;; amdgpu-corpus repo=ROCm/Tensile kind=harvested arch=n/a opt=n/a

/******************************************/
/* Function Prefix                        */
/******************************************/



/******************************************/
/* Begin Kernel                           */
/******************************************/

// Component.Signature.SignatureDefault
.amdgcn_target "amdgcn-amd-amdhsa--gfx942"
.text
.protected Cijk_Ailk_Bjlk_SB_MT128x128x32_MI16x16x4x1_SN_1LDSB1_APM1_AF0EM1_AF1EM1_AMAS0_ASGT3128_ASLT_ASEM1_BL1_BS1_CLR0_DTVA1_DTVB0_ETSP_EPS1_ELFLR0_EMLL0_FSSC10_FL0_GLVWA1_GLVWB4_GRCGA1_GRCGB1_GRVWn1_GSU1_GSUASB_GLS1_IU1_K1_LBSPPA0_LBSPPB0_LPA0_LPB16_LRVW1_MIAV1_MKFGSU256_NTA0_NTB0_NTC3_NTD3_NEPBS16_NLCA2_NLCB1_ONLL1_PK0_PGR2_PLR9_PKA0_SIA3_SS0_SU8_SUM0_SUS128_SPO1_SRVW0_SSO4_SVW4_TSGRA0_TSGRB0_TT2_128_TLDS0_UMLDSA0_UMLDSB0_USFGROn1_VAW1_VSn1_VW1_VWB1_VFLRP0_WSGRA0_WSGRB1_WG64_4_1_WGM1
.globl Cijk_Ailk_Bjlk_SB_MT128x128x32_MI16x16x4x1_SN_1LDSB1_APM1_AF0EM1_AF1EM1_AMAS0_ASGT3128_ASLT_ASEM1_BL1_BS1_CLR0_DTVA1_DTVB0_ETSP_EPS1_ELFLR0_EMLL0_FSSC10_FL0_GLVWA1_GLVWB4_GRCGA1_GRCGB1_GRVWn1_GSU1_GSUASB_GLS1_IU1_K1_LBSPPA0_LBSPPB0_LPA0_LPB16_LRVW1_MIAV1_MKFGSU256_NTA0_NTB0_NTC3_NTD3_NEPBS16_NLCA2_NLCB1_ONLL1_PK0_PGR2_PLR9_PKA0_SIA3_SS0_SU8_SUM0_SUS128_SPO1_SRVW0_SSO4_SVW4_TSGRA0_TSGRB0_TT2_128_TLDS0_UMLDSA0_UMLDSB0_USFGROn1_VAW1_VSn1_VW1_VWB1_VFLRP0_WSGRA0_WSGRB1_WG64_4_1_WGM1
.p2align 8
.type Cijk_Ailk_Bjlk_SB_MT128x128x32_MI16x16x4x1_SN_1LDSB1_APM1_AF0EM1_AF1EM1_AMAS0_ASGT3128_ASLT_ASEM1_BL1_BS1_CLR0_DTVA1_DTVB0_ETSP_EPS1_ELFLR0_EMLL0_FSSC10_FL0_GLVWA1_GLVWB4_GRCGA1_GRCGB1_GRVWn1_GSU1_GSUASB_GLS1_IU1_K1_LBSPPA0_LBSPPB0_LPA0_LPB16_LRVW1_MIAV1_MKFGSU256_NTA0_NTB0_NTC3_NTD3_NEPBS16_NLCA2_NLCB1_ONLL1_PK0_PGR2_PLR9_PKA0_SIA3_SS0_SU8_SUM0_SUS128_SPO1_SRVW0_SSO4_SVW4_TSGRA0_TSGRB0_TT2_128_TLDS0_UMLDSA0_UMLDSB0_USFGROn1_VAW1_VSn1_VW1_VWB1_VFLRP0_WSGRA0_WSGRB1_WG64_4_1_WGM1,@function
.section .rodata,#alloc
.p2align 6
.amdhsa_kernel Cijk_Ailk_Bjlk_SB_MT128x128x32_MI16x16x4x1_SN_1LDSB1_APM1_AF0EM1_AF1EM1_AMAS0_ASGT3128_ASLT_ASEM1_BL1_BS1_CLR0_DTVA1_DTVB0_ETSP_EPS1_ELFLR0_EMLL0_FSSC10_FL0_GLVWA1_GLVWB4_GRCGA1_GRCGB1_GRVWn1_GSU1_GSUASB_GLS1_IU1_K1_LBSPPA0_LBSPPB0_LPA0_LPB16_LRVW1_MIAV1_MKFGSU256_NTA0_NTB0_NTC3_NTD3_NEPBS16_NLCA2_NLCB1_ONLL1_PK0_PGR2_PLR9_PKA0_SIA3_SS0_SU8_SUM0_SUS128_SPO1_SRVW0_SSO4_SVW4_TSGRA0_TSGRB0_TT2_128_TLDS0_UMLDSA0_UMLDSB0_USFGROn1_VAW1_VSn1_VW1_VWB1_VFLRP0_WSGRA0_WSGRB1_WG64_4_1_WGM1
  .amdhsa_user_sgpr_kernarg_segment_ptr 1
  .amdhsa_user_sgpr_kernarg_preload_offset 0
  .amdhsa_user_sgpr_kernarg_preload_length 0
  .amdhsa_user_sgpr_count 2
  .amdhsa_accum_offset 256 // accvgpr offset
  .amdhsa_next_free_vgpr 256 // vgprs
  .amdhsa_next_free_sgpr 60 // sgprs
  .amdhsa_group_segment_fixed_size 18432 // lds bytes
  .amdhsa_private_segment_fixed_size 0
  .amdhsa_system_sgpr_workgroup_id_x 1
  .amdhsa_system_sgpr_workgroup_id_y 1
  .amdhsa_system_sgpr_workgroup_id_z 1
  .amdhsa_system_vgpr_workitem_id 0
  .amdhsa_float_denorm_mode_32 3
  .amdhsa_float_denorm_mode_16_64 3
.end_amdhsa_kernel
.text

/******************************************/
/* Optimizations and Config:              */
/******************************************/
/* ThreadTile= 8 x 8 */
/* SubGroup= 16 x 16 */
/* VectorWidthA=1 */
/* VectorWidthB=1 */
/* GlobalLoadVectorWidthA=1, GlobalLoadVectorWidthB=4 */
/* DirectToLdsA=False */
/* DirectToLdsB=False */
/* UseSgprForGRO=False */
.amdgpu_metadata
---
amdhsa.version:
  - 1
  - 1
amdhsa.target: amdgcn-amd-amdhsa--gfx942
amdhsa.kernels:
  - .name: Cijk_Ailk_Bjlk_SB_MT128x128x32_MI16x16x4x1_SN_1LDSB1_APM1_AF0EM1_AF1EM1_AMAS0_ASGT3128_ASLT_ASEM1_BL1_BS1_CLR0_DTVA1_DTVB0_ETSP_EPS1_ELFLR0_EMLL0_FSSC10_FL0_GLVWA1_GLVWB4_GRCGA1_GRCGB1_GRVWn1_GSU1_GSUASB_GLS1_IU1_K1_LBSPPA0_LBSPPB0_LPA0_LPB16_LRVW1_MIAV1_MKFGSU256_NTA0_NTB0_NTC3_NTD3_NEPBS16_NLCA2_NLCB1_ONLL1_PK0_PGR2_PLR9_PKA0_SIA3_SS0_SU8_SUM0_SUS128_SPO1_SRVW0_SSO4_SVW4_TSGRA0_TSGRB0_TT2_128_TLDS0_UMLDSA0_UMLDSB0_USFGROn1_VAW1_VSn1_VW1_VWB1_VFLRP0_WSGRA0_WSGRB1_WG64_4_1_WGM1
    .symbol: 'Cijk_Ailk_Bjlk_SB_MT128x128x32_MI16x16x4x1_SN_1LDSB1_APM1_AF0EM1_AF1EM1_AMAS0_ASGT3128_ASLT_ASEM1_BL1_BS1_CLR0_DTVA1_DTVB0_ETSP_EPS1_ELFLR0_EMLL0_FSSC10_FL0_GLVWA1_GLVWB4_GRCGA1_GRCGB1_GRVWn1_GSU1_GSUASB_GLS1_IU1_K1_LBSPPA0_LBSPPB0_LPA0_LPB16_LRVW1_MIAV1_MKFGSU256_NTA0_NTB0_NTC3_NTD3_NEPBS16_NLCA2_NLCB1_ONLL1_PK0_PGR2_PLR9_PKA0_SIA3_SS0_SU8_SUM0_SUS128_SPO1_SRVW0_SSO4_SVW4_TSGRA0_TSGRB0_TT2_128_TLDS0_UMLDSA0_UMLDSB0_USFGROn1_VAW1_VSn1_VW1_VWB1_VFLRP0_WSGRA0_WSGRB1_WG64_4_1_WGM1.kd'
    .language:                   OpenCL C
    .language_version:
      - 2
      - 0
    .args:
      - .name:            Tensor2dSizeA
        .size:            8
        .offset:          0
        .value_kind:      by_value
        .value_type:      u64
      - .name:            Tensor2dSizeB
        .size:            8
        .offset:          8
        .value_kind:      by_value
        .value_type:      u64
      - .name:            AddressD
        .size:            8
        .offset:          16
        .value_kind:      by_value
        .value_type:      u64
      - .name:            AddressC
        .size:            8
        .offset:          24
        .value_kind:      by_value
        .value_type:      u64
      - .name:            AddressA
        .size:            8
        .offset:          32
        .value_kind:      by_value
        .value_type:      u64
      - .name:            AddressB
        .size:            8
        .offset:          40
        .value_kind:      by_value
        .value_type:      u64
      - .name:            Alpha
        .size:            4
        .offset:          48
        .value_kind:      by_value
        .value_type:      u32
      - .name:            Beta
        .size:            4
        .offset:          52
        .value_kind:      by_value
        .value_type:      u32
      - .name:            StridesD
        .size:            8
        .offset:          56
        .value_kind:      by_value
        .value_type:      u64
      - .name:            StridesC
        .size:            8
        .offset:          64
        .value_kind:      by_value
        .value_type:      u64
      - .name:            StridesA
        .size:            8
        .offset:          72
        .value_kind:      by_value
        .value_type:      u64
      - .name:            StridesB
        .size:            8
        .offset:          80
        .value_kind:      by_value
        .value_type:      u64
      - .name:            SizesFree
        .size:            12
        .offset:          88
        .value_kind:      by_value
        .value_type:      u96
      - .name:            SizesSum
        .size:            4
        .offset:          100
        .value_kind:      by_value
        .value_type:      u32
      - .name:            OrigStaggerUIter
        .size:            4
        .offset:          104
        .value_kind:      by_value
        .value_type:      u32
      - .name:            NumWorkGroups0
        .size:            4
        .offset:          108
        .value_kind:      by_value
        .value_type:      u32
      - .name:            NumWorkGroups1
        .size:            4
        .offset:          112
        .value_kind:      by_value
        .value_type:      u32
    .group_segment_fixed_size:   18432
    .kernarg_segment_align:      8
    .kernarg_segment_size:       120
    .max_flat_workgroup_size:    256
    .private_segment_fixed_size: 0
    .sgpr_count:                 60
    .sgpr_spill_count:           0
    .vgpr_count:                 256
    .vgpr_spill_count:           0
    .wavefront_size:             64
...
.end_amdgpu_metadata
Cijk_Ailk_Bjlk_SB_MT128x128x32_MI16x16x4x1_SN_1LDSB1_APM1_AF0EM1_AF1EM1_AMAS0_ASGT3128_ASLT_ASEM1_BL1_BS1_CLR0_DTVA1_DTVB0_ETSP_EPS1_ELFLR0_EMLL0_FSSC10_FL0_GLVWA1_GLVWB4_GRCGA1_GRCGB1_GRVWn1_GSU1_GSUASB_GLS1_IU1_K1_LBSPPA0_LBSPPB0_LPA0_LPB16_LRVW1_MIAV1_MKFGSU256_NTA0_NTB0_NTC3_NTD3_NEPBS16_NLCA2_NLCB1_ONLL1_PK0_PGR2_PLR9_PKA0_SIA3_SS0_SU8_SUM0_SUS128_SPO1_SRVW0_SSO4_SVW4_TSGRA0_TSGRB0_TT2_128_TLDS0_UMLDSA0_UMLDSB0_USFGROn1_VAW1_VSn1_VW1_VWB1_VFLRP0_WSGRA0_WSGRB1_WG64_4_1_WGM1:

/******************************************/
/* Asm syntax workarounds                 */
/******************************************/
.macro _v_add_co_u32 dst:req, cc:req, src0:req, src1:req, dpp=
   v_add_co_u32 \dst, \cc, \src0, \src1 \dpp
.endm

.macro _v_add_u32 dst:req, src0:req, src1:req, dpp=
   v_add_u32 \dst, \src0, \src1 \dpp
.endm

.macro _v_add_i32 dst:req, src0:req, src1:req, dpp=
   v_add_i32 \dst, \src0, \src1 \dpp
.endm

.macro _v_addc_co_u32 dst:req, ccOut:req, src0:req, ccIn:req, src1:req, dpp=
   v_addc_co_u32 \dst, \ccOut, \src0, \ccIn, \src1 \dpp
.endm

.macro _v_sub_co_u32 dst:req, cc:req, src0:req, src1:req, dpp=
   v_sub_co_u32 \dst, \cc, \src0, \src1 \dpp
.endm

.macro _v_sub_u32 dst:req, src0:req, src1:req, dpp=
   v_sub_u32 \dst, \src0, \src1 \dpp
.endm

.macro _v_sub_i32 dst:req, src0:req, src1:req, dpp=
   v_sub_i32 \dst, \src0, \src1 \dpp
.endm

.macro _v_add_lshl_u32 dst:req, src0:req, src1:req, shiftCnt:req
    v_add_lshl_u32 \dst, \src0, \src1, \shiftCnt
.endm

.macro _v_lshl_add_u32 dst:req, src0:req, src1:req, shiftCnt:req
    v_lshl_add_u32 \dst, \src0, \src1, \shiftCnt
.endm

.macro _v_lshl_or_b32 dst:req, src0:req, shiftCnt:req, src1:req
    v_lshl_or_b32 \dst, \src0, \shiftCnt, \src1
.endm

.macro _v_dot2acc_f32_f16 dst, src0, src1
v_dot2c_f32_f16 \dst, \src0, \src1
.endm

.macro _v_cmpx_lt_i16 dst, src0, src1=
   v_cmpx_lt_i16 \dst, \src0, \src1 
.endm

.macro _v_cmpx_lt_i32 dst, src0, src1=
   v_cmpx_lt_i32 \dst, \src0, \src1 
.endm

.macro _v_cmpx_lt_i64 dst, src0, src1=
   v_cmpx_lt_i64 \dst, \src0, \src1 
.endm

.macro _v_cmpx_lt_u16 dst, src0, src1=
   v_cmpx_lt_u16 \dst, \src0, \src1 
.endm

.macro _v_cmpx_lt_u32 dst, src0, src1=
   v_cmpx_lt_u32 \dst, \src0, \src1 
.endm

.macro _v_cmpx_lt_u64 dst, src0, src1=
   v_cmpx_lt_u64 \dst, \src0, \src1 
.endm

.macro _v_cmpx_eq_i16 dst, src0, src1=
   v_cmpx_eq_i16 \dst, \src0, \src1 
.endm

.macro _v_cmpx_eq_i32 dst, src0, src1=
   v_cmpx_eq_i32 \dst, \src0, \src1 
.endm

.macro _v_cmpx_eq_i64 dst, src0, src1=
   v_cmpx_eq_i64 \dst, \src0, \src1 
.endm

.macro _v_cmpx_eq_u16 dst, src0, src1=
   v_cmpx_eq_u16 \dst, \src0, \src1 
.endm

.macro _v_cmpx_eq_u32 dst, src0, src1=
   v_cmpx_eq_u32 \dst, \src0, \src1 
.endm

.macro _v_cmpx_eq_u64 dst, src0, src1=
   v_cmpx_eq_u64 \dst, \src0, \src1 
.endm

.macro _v_cmpx_le_i16 dst, src0, src1=
   v_cmpx_le_i16 \dst, \src0, \src1 
.endm

.macro _v_cmpx_le_i32 dst, src0, src1=
   v_cmpx_le_i32 \dst, \src0, \src1 
.endm

.macro _v_cmpx_le_i64 dst, src0, src1=
   v_cmpx_le_i64 \dst, \src0, \src1 
.endm

.macro _v_cmpx_le_u16 dst, src0, src1=
   v_cmpx_le_u16 \dst, \src0, \src1 
.endm

.macro _v_cmpx_le_u32 dst, src0, src1=
   v_cmpx_le_u32 \dst, \src0, \src1 
.endm

.macro _v_cmpx_le_u64 dst, src0, src1=
   v_cmpx_le_u64 \dst, \src0, \src1 
.endm

.macro _v_cmpx_gt_i16 dst, src0, src1=
   v_cmpx_gt_i16 \dst, \src0, \src1 
.endm

.macro _v_cmpx_gt_i32 dst, src0, src1=
   v_cmpx_gt_i32 \dst, \src0, \src1 
.endm

.macro _v_cmpx_gt_i64 dst, src0, src1=
   v_cmpx_gt_i64 \dst, \src0, \src1 
.endm

.macro _v_cmpx_gt_u16 dst, src0, src1=
   v_cmpx_gt_u16 \dst, \src0, \src1 
.endm

.macro _v_cmpx_gt_u32 dst, src0, src1=
   v_cmpx_gt_u32 \dst, \src0, \src1 
.endm

.macro _v_cmpx_gt_u64 dst, src0, src1=
   v_cmpx_gt_u64 \dst, \src0, \src1 
.endm

.macro _v_cmpx_ne_i16 dst, src0, src1=
   v_cmpx_ne_i16 \dst, \src0, \src1 
.endm

.macro _v_cmpx_ne_i32 dst, src0, src1=
   v_cmpx_ne_i32 \dst, \src0, \src1 
.endm

.macro _v_cmpx_ne_i64 dst, src0, src1=
   v_cmpx_ne_i64 \dst, \src0, \src1 
.endm

.macro _v_cmpx_ne_u16 dst, src0, src1=
   v_cmpx_ne_u16 \dst, \src0, \src1 
.endm

.macro _v_cmpx_ne_u32 dst, src0, src1=
   v_cmpx_ne_u32 \dst, \src0, \src1 
.endm

.macro _v_cmpx_ne_u64 dst, src0, src1=
   v_cmpx_ne_u64 \dst, \src0, \src1 
.endm

.macro _v_cmpx_lg_i16 dst, src0, src1=
   v_cmpx_lg_i16 \dst, \src0, \src1 
.endm

.macro _v_cmpx_lg_i32 dst, src0, src1=
   v_cmpx_lg_i32 \dst, \src0, \src1 
.endm

.macro _v_cmpx_lg_i64 dst, src0, src1=
   v_cmpx_lg_i64 \dst, \src0, \src1 
.endm

.macro _v_cmpx_lg_u16 dst, src0, src1=
   v_cmpx_lg_u16 \dst, \src0, \src1 
.endm

.macro _v_cmpx_lg_u32 dst, src0, src1=
   v_cmpx_lg_u32 \dst, \src0, \src1 
.endm

.macro _v_cmpx_lg_u64 dst, src0, src1=
   v_cmpx_lg_u64 \dst, \src0, \src1 
.endm

.macro _v_cmpx_ge_i16 dst, src0, src1=
   v_cmpx_ge_i16 \dst, \src0, \src1 
.endm

.macro _v_cmpx_ge_i32 dst, src0, src1=
   v_cmpx_ge_i32 \dst, \src0, \src1 
.endm

.macro _v_cmpx_ge_i64 dst, src0, src1=
   v_cmpx_ge_i64 \dst, \src0, \src1 
.endm

.macro _v_cmpx_ge_u16 dst, src0, src1=
   v_cmpx_ge_u16 \dst, \src0, \src1 
.endm

.macro _v_cmpx_ge_u32 dst, src0, src1=
   v_cmpx_ge_u32 \dst, \src0, \src1 
.endm

.macro _v_cmpx_ge_u64 dst, src0, src1=
   v_cmpx_ge_u64 \dst, \src0, \src1 
.endm

.macro _v_cmpx_o_i16 dst, src0, src1=
   v_cmpx_o_i16 \dst, \src0, \src1 
.endm

.macro _v_cmpx_o_i32 dst, src0, src1=
   v_cmpx_o_i32 \dst, \src0, \src1 
.endm

.macro _v_cmpx_o_i64 dst, src0, src1=
   v_cmpx_o_i64 \dst, \src0, \src1 
.endm

.macro _v_cmpx_o_u16 dst, src0, src1=
   v_cmpx_o_u16 \dst, \src0, \src1 
.endm

.macro _v_cmpx_o_u32 dst, src0, src1=
   v_cmpx_o_u32 \dst, \src0, \src1 
.endm

.macro _v_cmpx_o_u64 dst, src0, src1=
   v_cmpx_o_u64 \dst, \src0, \src1 
.endm

.macro _v_cmpx_u_i16 dst, src0, src1=
   v_cmpx_u_i16 \dst, \src0, \src1 
.endm

.macro _v_cmpx_u_i32 dst, src0, src1=
   v_cmpx_u_i32 \dst, \src0, \src1 
.endm

.macro _v_cmpx_u_i64 dst, src0, src1=
   v_cmpx_u_i64 \dst, \src0, \src1 
.endm

.macro _v_cmpx_u_u16 dst, src0, src1=
   v_cmpx_u_u16 \dst, \src0, \src1 
.endm

.macro _v_cmpx_u_u32 dst, src0, src1=
   v_cmpx_u_u32 \dst, \src0, \src1 
.endm

.macro _v_cmpx_u_u64 dst, src0, src1=
   v_cmpx_u_u64 \dst, \src0, \src1 
.endm
.macro _v_mac_f32 c:req, a:req, b:req
    v_fmac_f32 \c, \a, \b
.endmacro

/* scale global load macros */
.macro _s_load_b32 dst base offset
    s_load_dword \dst \base \offset
.endm

.macro _s_load_b64 dst base offset
    s_load_dwordx2 \dst \base \offset
.endm

.macro _s_load_b128 dst base offset
    s_load_dwordx4 \dst \base \offset
.endm

.macro _s_load_b256 dst base offset
    s_load_dwordx8 \dst \base \offset
.endm

.macro _s_load_b512 dst base offset
    s_load_dwordx16 \dst \base \offset
.endm


/* ds operation macros */
.macro _ds_load_u8 dst src offset
    ds_read_u8 \dst \src \offset
.endm

.macro _ds_load_u8_d16_hi dst src offset
    ds_read_u8_d16_hi \dst \src \offset
.endm

.macro _ds_load_u16 dst src offset
    ds_read_u16 \dst \src \offset
.endm

.macro _ds_load_u16_d16_hi dst src offset
    ds_read_u16_d16_hi \dst \src \offset
.endm

.macro _ds_load_b32 dst src offset
    ds_read_b32 \dst \src \offset
.endm

.macro _ds_load_b64 dst src offset
    ds_read_b64 \dst \src \offset
.endm

.macro _ds_load_b128 dst src offset
    ds_read_b128 \dst \src \offset
.endm

.macro _ds_store_b8 dst src offset
    ds_write_b8 \dst \src \offset
.endm

.macro _ds_store_b8_d16_hi dst src offset
    ds_write_b8_d16_hi \dst \src \offset
.endm

.macro _ds_store_b16 dst src offset
    ds_write_b16 \dst \src \offset
.endm

.macro _ds_store_b16_d16_hi dst src offset
    ds_write_b16_d16_hi \dst \src \offset
.endm

.macro _ds_store_b32 dst src offset
    ds_write_b32 \dst \src \offset
.endm

.macro _ds_store_b64 dst src offset
    ds_write_b64 \dst \src \offset
.endm

.macro _ds_store_b128 dst src offset
    ds_write_b128 \dst \src \offset
.endm

.macro _ds_load2_b32 dst src offset1 offset2
    ds_read2_b32 \dst \src \offset1 \offset2
.endm

.macro _ds_load2_b64 dst src offset1 offset2
    ds_read2_b64 \dst \src \offset1 \offset2
.endm

.macro _ds_store2_b32 dst src offset1 offset2
    ds_write2_b32 \dst \src \offset1 \offset2
.endm

.macro _ds_store2_b64 dst src offset1 offset2
    ds_write2_b64 \dst \src \offset1 \offset2
.endm


/* buffer memory operation macros */
.macro _buffer_load_b32 dst voffset base soffset offen ioffset md0 md1 md2
    buffer_load_dword \dst \voffset \base \soffset \offen \ioffset \md0 \md1 \md2
.endm

.macro _buffer_load_b64 dst voffset base soffset offen ioffset md0 md1 md2
    buffer_load_dwordx2 \dst \voffset \base \soffset \offen \ioffset \md0 \md1 \md2
.endm

.macro _buffer_load_b96 dst voffset base soffset offen ioffset md0 md1 md2
    buffer_load_dwordx3 \dst \voffset \base \soffset \offen \ioffset \md0 \md1 \md2
.endm

.macro _buffer_load_b128 dst voffset base soffset offen ioffset md0 md1 md2
    buffer_load_dwordx4 \dst \voffset \base \soffset \offen \ioffset \md0 \md1 \md2
.endm

.macro _buffer_load_d16_b16 dst voffset base soffset offen ioffset md0 md1 md2
    buffer_load_short_d16 \dst \voffset \base \soffset \offen \ioffset \md0 \md1 \md2
.endm

.macro _buffer_load_d16_hi_b16 dst voffset base soffset offen ioffset md0 md1 md2
    buffer_load_short_d16_hi \dst \voffset \base \soffset \offen \ioffset \md0 \md1 \md2
.endm

.macro _buffer_load_d16_u8 dst voffset base soffset offen ioffset md0 md1 md2
    buffer_load_ubyte_d16 \dst \voffset \base \soffset \offen \ioffset \md0 \md1 \md2
.endm

.macro _buffer_load_d16_hi_u8 dst voffset base soffset offen ioffset md0 md1 md2
    buffer_load_ubyte_d16_hi \dst \voffset \base \soffset \offen \ioffset \md0 \md1 \md2
.endm

.macro _buffer_load_u16 dst voffset base soffset offen ioffset md0 md1 md2
    buffer_load_ushort \dst \voffset \base \soffset \offen \ioffset \md0 \md1 \md2
.endm

.macro _buffer_load_b32_dtl voffset base soffset offen ioffset md0 md1 md2
    buffer_load_dword \voffset \base \soffset \offen \ioffset \md0 \md1 \md2
.endm

.macro _buffer_load_b64_dtl voffset base soffset offen ioffset md0 md1 md2
    buffer_load_dwordx2 \voffset \base \soffset \offen \ioffset \md0 \md1 \md2
.endm

.macro _buffer_load_b128_dtl voffset base soffset offen ioffset md0 md1 md2
    buffer_load_dwordx4 \voffset \base \soffset \offen \ioffset \md0 \md1 \md2
.endm

.macro _buffer_load_u16_dtl voffset base soffset offen ioffset md0 md1 md2
    buffer_load_ushort \voffset \base \soffset \offen \ioffset \md0 \md1 \md2
.endm

.macro _buffer_store_b32 src voffset base soffset offen ioffset md0 md1 md2
    buffer_store_dword \src \voffset \base \soffset \offen \ioffset \md0 \md1 \md2
.endm

.macro _buffer_store_b64 src voffset base soffset offen ioffset md0 md1 md2
    buffer_store_dwordx2 \src \voffset \base \soffset \offen \ioffset \md0 \md1 \md2
.endm

.macro _buffer_store_b96 src voffset base soffset offen ioffset md0 md1 md2
    buffer_store_dwordx3 \src \voffset \base \soffset \offen \ioffset \md0 \md1 \md2
.endm

.macro _buffer_store_b128 src voffset base soffset offen ioffset md0 md1 md2
    buffer_store_dwordx4 \src \voffset \base \soffset \offen \ioffset \md0 \md1 \md2
.endm

.macro _buffer_store_b16 src voffset base soffset offen ioffset md0 md1 md2
    buffer_store_short \src \voffset \base \soffset \offen \ioffset \md0 \md1 \md2
.endm

.macro _buffer_store_d16_hi_b16 src voffset base soffset offen ioffset md0 md1 md2
    buffer_store_short_d16_hi \src \voffset \base \soffset \offen \ioffset \md0 \md1 \md2
.endm

.macro _buffer_store_b8 src voffset base soffset offen ioffset md0 md1 md2
    buffer_store_byte \src \voffset \base \soffset \offen \ioffset \md0 \md1 \md2
.endm

.macro _buffer_store_d16_hi_b8 src voffset base soffset offen ioffset md0 md1 md2
    buffer_store_byte_d16_hi \src \voffset \base \soffset \offen \ioffset \md0 \md1 \md2
.endm

.macro _buffer_atomic_cmpswap_b32 dst voffset base soffset offen ioffset md0 md1 md2
    buffer_atomic_cmpswap \dst \voffset \base \soffset \offen \ioffset \md0 \md1 \md2
.endm

.macro _buffer_atomic_cmpswap_b64 dst voffset base soffset offen ioffset md0 md1 md2
    buffer_atomic_cmpswap_x2 \dst \voffset \base \soffset \offen \ioffset \md0 \md1 \md2
.endm


/* buffer memory operation macros */
.macro _global_load_b32 dst base src ioffset md0 md1 md2
    global_load_dword \dst \base \src \ioffset \md0 \md1 \md2
.endm

.macro _global_load_b64 dst base src ioffset md0 md1 md2
    global_load_dwordx2 \dst \base \src \ioffset \md0 \md1 \md2
.endm

.macro _global_load_b96 dst base src ioffset md0 md1 md2
    global_load_dwordx3 \dst \base \src \ioffset \md0 \md1 \md2
.endm

.macro _global_load_b128 dst base src ioffset md0 md1 md2
    global_load_dwordx4 \dst \base \src \ioffset \md0 \md1 \md2
.endm

.macro _global_load_d16_b16 dst base src ioffset md0 md1 md2
    global_load_short_d16 \dst \base \src \ioffset \md0 \md1 \md2
.endm

.macro _global_load_d16_hi_b16 dst base src ioffset md0 md1 md2
    global_load_short_d16_hi \dst \base \src \ioffset \md0 \md1 \md2
.endm

.macro _global_load_d16_u8 dst base src ioffset md0 md1 md2
    global_load_ubyte_d16 \dst \base \src \ioffset \md0 \md1 \md2
.endm

.macro _global_load_d16_hi_u8 dst base src ioffset md0 md1 md2
    global_load_ubyte_d16_hi \dst \base \src \ioffset \md0 \md1 \md2
.endm

.macro _global_load_u16 dst base src ioffset md0 md1 md2
    global_load_ushort \dst \base \src \ioffset \md0 \md1 \md2
.endm

.macro _global_store_b32 base src src2 md0 md1 md2
    global_store_dword \base \src \src2 \md0 \md1 \md2
.endm

.macro _global_store_b64 base src src2 md0 md1 md2
    global_store_dwordx2 \base \src \src2 \md0 \md1 \md2
.endm

.macro _global_store_b96 base src src2 md0 md1 md2
    global_store_dwordx3 \base \src \src2 \md0 \md1 \md2
.endm

.macro _global_store_b128 base src src2 md0 md1 md2
    global_store_dwordx4 \base \src \src2 \md0 \md1 \md2
.endm

.macro _global_store_d16_b16 base src src2 md0 md1 md2
    global_store_short \base \src \src2 \md0 \md1 \md2
.endm

.macro _global_store_d16_hi_b16 base src src2 md0 md1 md2
    global_store_short_d16_hi \base \src \src2 \md0 \md1 \md2
.endm

.macro _global_store_d16_u8 base src src2 md0 md1 md2
    global_store_ubyte_d16 \base \src \src2 \md0 \md1 \md2
.endm

.macro _global_store_d16_hi_u8 base src src2 md0 md1 md2
    global_store_ubyte_d16_hi \base \src \src2 \md0 \md1 \md2
.endm

.macro _global_store_u16 base src src2 md0 md1 md2
    global_store_ushort \base \src \src2 \md0 \md1 \md2
.endm

.macro _global_atomic_cmpswap_b32 tmp base data src ioffset md
    global_atomic_cmpswap \tmp \base \data \src \ioffset \md
.endm

.macro _global_atomic_cmpswap_b64 tmp base data src ioffset md
    global_atomic_cmpswap_x2 \tmp \base \data \src \ioffset \md
.endm


/******************************************/
/* Magic div and mod functions            */
/******************************************/
.macro V_MAGIC_DIV dstIdx:req, dividend:req, magicNumber:req, magicShift:req, magicA:req
    v_mul_hi_u32 v[\dstIdx+1], \dividend, \magicNumber
    v_mul_lo_u32 v[\dstIdx+0], \dividend, \magicA
    _v_add_u32 v[\dstIdx+0], v[\dstIdx+0], v[\dstIdx+1]
    v_lshrrev_b32 v[\dstIdx+0], \magicShift, v[\dstIdx+0]
.endm

/******************************************/
/* VGPR Assignments                       */
/******************************************/
/* ValuC range: [0-64), serializedStore enabled */
.set vgprValuC, 0
/* ValuA/B   Xn=PLR buffer idx,  In=InnerUnroll idx */
.set vgprG2LA, 150
.set vgprG2LA0, 150
.set vgprG2LA1, 166
.set vgprValuB_X0_I0, 64
.set vgprValuB_X1_I0, 72
.set vgprValuB_X2_I0, 80
.set vgprValuB_X3_I0, 88
.set vgprValuB_X4_I0, 96
.set vgprValuB_X5_I0, 104
.set vgprValuB_X6_I0, 112
.set vgprValuB_X7_I0, 120
.set vgprG2LB, 182
.set vgprLocalWriteAddrB, 128
.set vgprGlobalReadOffsetA, 129
.set vgprGlobalReadOffsetB, 145
.set vgprLocalReadAddrB, 198
.set vgprSerial, 199
/* Num VGPR=256 */
/* Num AccVGPR=0 */

/******************************************/
/* SGPR Assignments                       */
/******************************************/
.set sgprKernArgAddress, 0 // (2)
.set sgprWorkGroup0, 2 // (1)
.set sgprWorkGroup1, 3 // (1)
.set sgprWorkGroup2, 4 // (1)
.set sgprLoopCounterL, 5 // (1)
.set sgprOrigLoopCounter, 6 // (1)
.set sgprSrdA, 8 // (4)
.set sgprSrdB, 12 // (4)
.set sgprSrdD, 16 // (4)
.set sgprSrdC, 20 // (4)
.set sgprTensor2dSizeA, 24 // (2)
.set sgprTensor2dSizeB, 26 // (2)
.set sgprAddressD, 28 // (2)
.set sgprAddressC, 30 // (2)
.set sgprAddressA, 32 // (2)
.set sgprAddressB, 34 // (2)
.set sgprAlpha, 36 // (1)
.set sgprBeta, 37 // (1)
.set sgprStridesD, 38 // (2)
.set sgprStridesC, 40 // (2)
.set sgprStridesA, 42 // (2)
.set sgprStridesB, 44 // (2)
.set sgprSizesFree, 46 // (3)
.set sgprSizesSum, 49 // (1)
.set sgprOrigStaggerUIter, 50 // (1)
.set sgprNumWorkGroups0, 51 // (1)
.set sgprNumWorkGroups1, 52 // (1)
.set sgprShadowLimitA, 0 // (2)
.set sgprShadowLimitB, 28 // (2)
.set sgprStaggerUIter, 7 // (1)
.set sgprWrapUA, 30 // (2)
.set sgprWrapUB, 32 // (2)
.set sgprGlobalReadIncsA, 34 // (1)
.set sgprGlobalReadIncsB, 35 // (1)
/* max SGPR=60 */

/* Size Assignments */
.set sgprSizeI, sgprSizesFree+0
.set sgprSizeJ, sgprSizesFree+1
.set sgprSizeK, sgprSizesFree+2
.set sgprSizeL, sgprSizesSum+0

/* Stride Assignments */
.set constStrideD0I, 1
.set sgprStrideD1J, sgprStridesD+0
.set sgprStrideDK, sgprStridesD+1
.set constStrideC0I, 1
.set sgprStrideC1J, sgprStridesC+0
.set sgprStrideCK, sgprStridesC+1
.set constStrideA0I, 1
.set sgprStrideAL, sgprStridesA+0
.set sgprStrideAK, sgprStridesA+1
.set constStrideB1J, 1
.set sgprStrideBL, sgprStridesB+0
.set sgprStrideBK, sgprStridesB+1

.set MT0, 128
.set MT1, 128
.set DepthU, 32
.set GSU, 1
.set BpeA, 4
.set BpeALog2, 2
.set BpeB, 4
.set BpeBLog2, 2
/* Number of elements to shift-left SRD */
.set SrdShiftLeftA, 1
.set SrdShiftLeftB, 4
/* 2GB limit - set offsets to -1 to exceed this and clamp */
.set BufferLimitA, 0xffffffff
.set BufferLimitB, 0xffffffff
.set BufferOOB, 0xfffff000

/******************************************/
/* Bits 127:96 of SRD.                    */
/* hex: 0x00020000                        */
/* dst_sel_x (3b): 0                      */
/* dst_sel_y (3b): 0                      */
/* dst_sel_z (3b): 0                      */
/* dst_sel_w (3b): 0                      */
/* num_format (3b): 0                     */
/* data_format (4b): 4                    */
/* user_vm_enable (1b): 0                 */
/* user_vm_mode (1b): 0                   */
/* index_stride (2b): 0                   */
/* add_tid_enable (1b): 0                 */
/* _unusedA (3b): 0                       */
/* nv (1b): 0                             */
/* _unusedB (2b): 0                       */
/* type (2b): 0                           */
/******************************************/
.set Srd127_96, 0x00020000

/* Global Offset A */
.macro GLOBAL_OFFSET_A vgprAddr:req vgprOffset0I:req vgprOffsetL:req vgprTmp:req
v_mul_lo_u32 v[\vgprTmp+0], s[sgprStrideAL], v[\vgprOffsetL] // mul d1 lower
_v_add_co_u32 v[\vgprAddr+0], vcc, v[\vgprOffset0I], v[\vgprTmp+0] // accumulate K lower
_v_add_u32 v[\vgprAddr+0], 0x1, v[\vgprAddr+0]     // add prepad for pointer shift
v_lshlrev_b32 v[\vgprAddr+0], 0x2, v[\vgprAddr+0]  // offset *= bytes/element
.endm

/* Global Offset B */
.macro GLOBAL_OFFSET_B vgprAddr:req vgprOffset1J:req vgprOffsetL:req vgprTmp:req
v_mul_lo_u32 v[\vgprTmp+0], s[sgprStrideBL], v[\vgprOffsetL] // mul d1 lower
_v_add_co_u32 v[\vgprAddr+0], vcc, v[\vgprOffset1J], v[\vgprTmp+0] // accumulate K lower
_v_add_u32 v[\vgprAddr+0], 0x4, v[\vgprAddr+0]     // add prepad for pointer shift
v_lshlrev_b32 v[\vgprAddr+0], 0x2, v[\vgprAddr+0]  // offset *= bytes/element
.endm

/******************************************/
/* Dynamic Scalar Divide: vQuotient=vDividend/vDivisor; vRemainder=vDividend%vDivisor; */
/******************************************/
.macro DYNAMIC_VECTOR_DIVIDE vQuotient vRemainder vDividend vDivisor vTmp0 vTmp1 sTmp
v_cvt_f32_u32 v[\vQuotient], v[\vDivisor]          // 
v_rcp_f32 v[\vQuotient], v[\vQuotient]             // 
v_mul_f32 v[\vQuotient], 0x4f800000, v[\vQuotient] // 
v_cvt_u32_f32 v[\vQuotient], v[\vQuotient]         // 
v_mul_lo_u32 v[\vRemainder], v[\vDivisor], v[\vQuotient] // 
v_mul_hi_u32 v[\vTmp0], v[\vDivisor], v[\vQuotient] // 
_v_sub_co_u32 v[\vTmp1], vcc, 0x0, v[\vRemainder]  // 
v_cmp_ne_i32 s[\sTmp:\sTmp+1], 0x0, v[\vTmp0]      // 
v_cndmask_b32 v[\vRemainder], v[\vTmp1], v[\vRemainder], s[\sTmp:\sTmp+1] // 
v_mul_hi_u32 v[\vRemainder], v[\vRemainder], v[\vQuotient] // 
_v_sub_co_u32 v[\vTmp0], vcc, v[\vQuotient], v[\vRemainder] // 
_v_add_co_u32 v[\vQuotient], vcc, v[\vQuotient], v[\vRemainder] // 
v_cndmask_b32 v[\vQuotient], v[\vQuotient], v[\vTmp0], s[\sTmp:\sTmp+1] // 
v_mul_hi_u32 v[\vQuotient], v[\vQuotient], v[\vDividend] // 
v_mul_lo_u32 v[\vRemainder], v[\vQuotient], v[\vDivisor] // 
_v_sub_co_u32 v[\vTmp0], vcc, v[\vDividend], v[\vRemainder] // 
v_cmp_ge_u32 s[\sTmp:\sTmp+1], v[\vDividend], v[\vRemainder] // 
_v_add_co_u32 v[\vRemainder], vcc, 0x1, v[\vQuotient] // 
_v_add_co_u32 v[\vTmp1], vcc, -1, v[\vQuotient]    // 
v_cmp_le_u32 vcc, v[\vDivisor], v[\vTmp0]          // 
s_and_b64 vcc, s[\sTmp:\sTmp+1], vcc               // 
v_cndmask_b32 v[\vQuotient], v[\vQuotient], v[\vRemainder], vcc // 
v_cndmask_b32 v[\vQuotient], v[\vTmp1], v[\vQuotient], s[\sTmp:\sTmp+1] // 
v_cmp_ne_i32 vcc, 0x0, v[\vDivisor]                // 
v_cndmask_b32 v[\vQuotient], -1, v[\vQuotient], vcc // final result
v_mul_lo_u32 v[\vRemainder], v[\vQuotient], v[\vDivisor] // 
_v_sub_co_u32 v[\vRemainder], vcc, v[\vDividend], v[\vRemainder] // final result
.endm


	;; [unrolled: 1-line block ×3, first 2 shown]
/******************************************/
/* Allocate Resources                     */
/******************************************/

Cijk_Ailk_Bjlk_SB_MT128x128x32_MI16x16x4x1_SN_1LDSB1_APM1_AF0EM1_AF1EM1_AMAS0_ASGT3128_ASLT_ASEM1_BL1_BS1_CLR0_DTVA1_DTVB0_ETSP_EPS1_ELFLR0_EMLL0_FSSC10_FL0_GLVWA1_GLVWB4_GRCGA1_GRCGB1_GRVWn1_GSU1_GSUASB_GLS1_IU1_K1_LBSPPA0_LBSPPB0_LPA0_LPB16_LRVW1_MIAV1_MKFGSU256_NTA0_NTB0_NTC3_NTD3_NEPBS16_NLCA2_NLCB1_ONLL1_PK0_PGR2_PLR9_PKA0_SIA3_SS0_SU8_SUM0_SUS128_SPO1_SRVW0_SSO4_SVW4_TSGRA0_TSGRB0_TT2_128_TLDS0_UMLDSA0_UMLDSB0_USFGROn1_VAW1_VSn1_VW1_VWB1_VFLRP0_WSGRA0_WSGRB1_WG64_4_1_WGM1_preloaded: // Kernel start when preloading
s_setprio 3                                        // optimization store

/* Load Kernel Args */
_s_load_b512 s[24:39], s[sgprKernArgAddress:sgprKernArgAddress+1], 0x0 // 
_s_load_b256 s[40:47], s[sgprKernArgAddress:sgprKernArgAddress+1], 0x40 // 
_s_load_b128 s[48:51], s[sgprKernArgAddress:sgprKernArgAddress+1], 0x60 // 
_s_load_b32 s52, s[sgprKernArgAddress:sgprKernArgAddress+1], 0x70 // 
s_mov_b32 m0, 0x4800                               // LDS clamp at 18432 bytes
v_mov_b32 v[vgprSerial], v0                        // thread serial id

/******************************************/
/* Local Read Addresses                   */
/******************************************/


/* local read addresses: tile assignments a/b */

/*lr1J*/
v_and_b32 v1, 63, v[vgprSerial]                    // 0. thread id in wave: wtid = tid % wavelength(64)
v_and_b32 v0, 15, v1                               // 1. N offset: nIdx = wtid % MI_N(16)
                                                   // 1. N offset: nOffset = nIdx * nStride(1) (multiplier is 1, do nothing)
                                                   // 2. block offset: bnIdx = bnIdx % num1DBlocks(1) is 0. do nothing
                                                   // 4. apply VectorWidth: bnOffset = bnOffset * vw(1) (multiplier is 1, do nothing)
v_lshrrev_b32 v1, 4, v1                            // 5. K offset: kIdx = wtid / (MIN(16) * MIBB(1))
s_mov_b32 s7, 0x90                                 // 5. K offset: lrKOffset = kIdx * mStride(144)
v_mul_lo_u32 v1, s7, v1                            // 5. K offset: lrKOffset = kIdx * mStride(144)
_v_add_u32 v0, v1, v0                              // 6. offset in wave: lrOffset = bnOffset + lrKOffset


/* local read addresses: final offsets a */


	;; [unrolled: 1-line block ×3, first 2 shown]
/* local read addresses: final offsets b */

v_lshlrev_b32 v[vgprLocalReadAddrB], 0x2, v0       // Final Offset: offset = (lro1)*bpe


/* local read addresses: declare addresses a */

/* N/A */


/* local read addresses: declare addresses b */


	;; [unrolled: 1-line block ×3, first 2 shown]
/* global read addresses: tile offset assignment a */

/* LVCA = 64 */
/* v0 = (local)groA-tile = serial%LVCA (note (wgA*MTA) will be added to SRD) */
/* v1 = groA-unroll = serial/LVCA */
v_and_b32 v1, 63, v[vgprSerial]                    // 0. thread id in wave: wtid = tid % wavelength(64)
v_and_b32 v0, 15, v1                               // 1. N offset: nIdx = wtid % MI_N(16)
                                                   // 1. N offset: nOffset = nIdx * nStride(1) (multiplier is 1, do nothing)
                                                   // 2. block offset: bnIdx = bnIdx % num1DBlocks(1) is 0. do nothing
                                                   // 4. apply VectorWidth: bnOffset = bnOffset * vw(1) (multiplier is 1, do nothing)
v_lshrrev_b32 v1, 4, v1                            // 5. K offset: kIdx = wtid / (MIN(16) * MIBB(1))
v_lshrrev_b32 v3, 6, v[vgprSerial]                 // v3 = v[vgprSerial] / 64
v_and_b32 v2, 3, v3                                // v2 = v3 % 4
v_lshlrev_b32 v2, 0x4, v2                          // v2 = v2 * 16
_v_add_u32 v0, v2, v0                              // 
                                                   // v1 = v1 * 1 (multiplier is 1, do nothing)
/* gro-tile *= glvw */
                                                   // v0 = v0 * 1 (multiplier is 1, do nothing)


/* global read addresses: tile offset assignment b */

/* LVCB = 32 */
/* v2 = (local)groB-tile = serial%LVCB (note (wgB*MTB) will be added to SRD) */
/* v3 = groB-unroll = serial/LVCB */
v_and_b32 v4, 63, v[vgprSerial]                    // v4 = v[vgprSerial] % 64
v_lshrrev_b32 v3, 5, v4                            // v3 = v4 / 32
v_and_b32 v2, 31, v4                               // v2 = v4 % 32
v_readfirstlane_b32 s54, v[vgprSerial]             // WaveIdxWavefrontWidth
s_lshr_b32 s54, s54, 0x6                           // WaveId
s_mul_i32 s54, s54, 8                              // Global Read Wave: each wave loads continuous lsp(2)*nrp(4) columns
_v_add_u32 v3, s54, v3                             // Global Read Wave: add back to column index
/* gro-tile *= glvw */
v_lshlrev_b32 v2, 0x2, v2                          // v2 = v2 * 4


/******************************************/
/* Local Write Addresses                  */
/******************************************/

/* lwaTileAssignmentA = v0 */

/* lwaTileAssignmentB = v2 */

/* lwaUnrollAssignmentA = v1 */

/* lwaUnrollAssignmentB = v3 */


/* local write addresses: first offset a */


	;; [unrolled: 1-line block ×3, first 2 shown]
/* local write addresses: first offset b */

v_mul_u32_u24 v[vgprLocalWriteAddrB], 0x90, v3     // lwBL**(MTB + PAD)
_v_add_lshl_u32 v[vgprLocalWriteAddrB], v2, v[vgprLocalWriteAddrB], 0x2 // lwFOB = (lwBB + lwBL*(MT1J+PAD))*bpe


	;; [unrolled: 1-line block ×7, first 2 shown]
s_waitcnt lgkmcnt(0)                               // wait for 116 bytes of kern args
s_mov_b64 s[sgprSrdC+0:sgprSrdC+0+1], s[sgprAddressC+0:sgprAddressC+0+1] // copy addressC
s_mov_b64 s[sgprSrdD+0:sgprSrdD+0+1], s[sgprAddressD+0:sgprAddressD+0+1] // copy addressD
s_sub_u32 s[sgprSrdA+0], s[sgprAddressA+0], 4      // pre-pad to make room for possible pointer shift
s_subb_u32 s[sgprSrdA+1], s[sgprAddressA+1], 0     // pre-pad to make room for possible pointer shift
s_sub_u32 s[sgprSrdB+0], s[sgprAddressB+0], 16     // pre-pad to make room for possible pointer shift
s_subb_u32 s[sgprSrdB+1], s[sgprAddressB+1], 0     // pre-pad to make room for possible pointer shift

.set AddressD, UNDEF
.set AddressC, UNDEF
.set AddressA, UNDEF
.set AddressB, UNDEF

/* Short circuit condition if Alpha == 0, then sumDims=0 */
v_cmp_eq_f32 vcc, s[sgprAlpha], 0.0                // Alpha == 0.0f ?
s_cbranch_vccz label_AlphaNonZero                  // branch if alpha != 0
s_mov_b32 s[sgprSizesSum+0], 0x0                   // Set summation dim=0 if Alpha == 0
label_AlphaNonZero:


	;; [unrolled: 1-line block ×3, first 2 shown]
/******************************************/
/* Begin setupNewTile, isPap=False           */
/******************************************/


/* global read addresses: work-group */

/* graWorkGroup mapping */


/* global read addresses: unroll assignment a */

/* v1 */


/* global read addresses: unroll assignment b */

/* v3 */


/* global read addresses: other free assignments */

/* s[sgprWorkGroup2] */


/* global read addresses: tile offsets a */

v_mov_b32 v4, v0                                   // groA0I_0
_v_add_co_u32 v5, vcc, 64, v4                      // groA0I_1 += LSCA


/* global read addresses: tile offsets b */

v_mov_b32 v6, v2                                   // groB1J_0


/* global read addresses: unroll offsets a */

v_mov_b32 v7, v1                                   // groAL_0
_v_add_co_u32 v8, vcc, 4, v7                       // groAL_1 + LSPA
_v_add_co_u32 v9, vcc, 4, v8                       // groAL_2 + LSPA
_v_add_co_u32 v10, vcc, 4, v9                      // groAL_3 + LSPA
_v_add_co_u32 v11, vcc, 4, v10                     // groAL_4 + LSPA
_v_add_co_u32 v12, vcc, 4, v11                     // groAL_5 + LSPA
_v_add_co_u32 v13, vcc, 4, v12                     // groAL_6 + LSPA
_v_add_co_u32 v14, vcc, 4, v13                     // groAL_7 + LSPA


/* global read addresses: unroll offsets b */

v_mov_b32 v15, v3                                  // groBL_0
_v_add_co_u32 v16, vcc, 2, v15                     // groBL_1 + LSPB
_v_add_co_u32 v17, vcc, 2, v16                     // groBL_2 + LSPB
_v_add_co_u32 v18, vcc, 2, v17                     // groBL_3 + LSPB


/* global read addresses: shift b */

s_mul_i32 s53, s[sgprWorkGroup1], 128              // WorkGroup[01] * MT
s_sub_u32 s53, s[sgprSizeJ], s53                   // edge = Size1J - WG*MT
s_sub_u32 s53, s53, 4                              // edge -= margin(4)
v_mov_b32 v19, s53                                 // edge vgpr = Size1J- WG*MT - margin(4)
v_min_i32 v6, v19, v6                              // offset = (offset < edge) ? offset(v6) : edge(v19)


/* global read addresses: final offsets a */

GLOBAL_OFFSET_A vgprGlobalReadOffsetA+0,  4,  7, 19 // gROA_0_0_0_0
GLOBAL_OFFSET_A vgprGlobalReadOffsetA+1,  5,  7, 19 // gROA_1_0_0_0
GLOBAL_OFFSET_A vgprGlobalReadOffsetA+2,  4,  8, 19 // gROA_0_0_1_0
GLOBAL_OFFSET_A vgprGlobalReadOffsetA+3,  5,  8, 19 // gROA_1_0_1_0
GLOBAL_OFFSET_A vgprGlobalReadOffsetA+4,  4,  9, 19 // gROA_0_0_2_0
GLOBAL_OFFSET_A vgprGlobalReadOffsetA+5,  5,  9, 19 // gROA_1_0_2_0
GLOBAL_OFFSET_A vgprGlobalReadOffsetA+6,  4, 10, 19 // gROA_0_0_3_0
GLOBAL_OFFSET_A vgprGlobalReadOffsetA+7,  5, 10, 19 // gROA_1_0_3_0
GLOBAL_OFFSET_A vgprGlobalReadOffsetA+8,  4, 11, 19 // gROA_0_0_4_0
GLOBAL_OFFSET_A vgprGlobalReadOffsetA+9,  5, 11, 19 // gROA_1_0_4_0
GLOBAL_OFFSET_A vgprGlobalReadOffsetA+10,  4, 12, 19 // gROA_0_0_5_0
GLOBAL_OFFSET_A vgprGlobalReadOffsetA+11,  5, 12, 19 // gROA_1_0_5_0
GLOBAL_OFFSET_A vgprGlobalReadOffsetA+12,  4, 13, 19 // gROA_0_0_6_0
GLOBAL_OFFSET_A vgprGlobalReadOffsetA+13,  5, 13, 19 // gROA_1_0_6_0
GLOBAL_OFFSET_A vgprGlobalReadOffsetA+14,  4, 14, 19 // gROA_0_0_7_0
GLOBAL_OFFSET_A vgprGlobalReadOffsetA+15,  5, 14, 19 // gROA_1_0_7_0


/* global read addresses: final offsets b */

GLOBAL_OFFSET_B vgprGlobalReadOffsetB+0,  6, 15, 7 // gROB_0_0_0_0
GLOBAL_OFFSET_B vgprGlobalReadOffsetB+1,  6, 16, 7 // gROB_0_0_1_0
GLOBAL_OFFSET_B vgprGlobalReadOffsetB+2,  6, 17, 7 // gROB_0_0_2_0
GLOBAL_OFFSET_B vgprGlobalReadOffsetB+3,  6, 18, 7 // gROB_0_0_3_0


/* global read addresses: addresses a */

/* max read offset = size[n] * stride[n-1] */
s_mul_hi_u32 s59, s[sgprWorkGroup0], 128           // WorkGroup[01] * MT
s_mul_i32 s58, s[sgprWorkGroup0], 128              // WorkGroup[01] * MT
s_sub_u32 s[sgprShadowLimitA+0], s[sgprTensor2dSizeA], s58 // sub tileStart
s_subb_u32 s[sgprShadowLimitA+1], s[sgprTensor2dSizeA+1], s59 // sub tileStart
s_lshl_b64 s[sgprShadowLimitA:sgprShadowLimitA+1], s[sgprShadowLimitA:sgprShadowLimitA+1], 0x2 // Set limit to use bytes
s_add_u32 s[sgprShadowLimitA+0], s[sgprShadowLimitA+0], 4 // extend limit for pre-pad
s_addc_u32 s[sgprShadowLimitA+1], s[sgprShadowLimitA+1], 0 // extend limit for pre-pad
s_cmp_eq_u32 s[sgprShadowLimitA+1], 0              // are we within 2^32?
s_cselect_b32 s[sgprSrdA+2], s[sgprShadowLimitA+0], BufferLimitA // Move shadow to real if we are within 2^32
s_mul_hi_u32 s57, s[sgprStrideAK], s[sgprWorkGroup2] // Stride*WG
s_mul_i32 s56, s[sgprStrideAK], s[sgprWorkGroup2]  // Stride*WG
s_add_u32 s58, s58, s56                            // accum wg term to tilestart
s_addc_u32 s59, s59, s57                           // accum wg term to tilestart
s_lshl_b64 s[58:59], s[58:59], 0x2                 // tileStart *= BPE
s_add_u32 s[sgprSrdA+0], s[sgprSrdA+0], s58        // SRD base = Address+ tileStart0
s_addc_u32 s[sgprSrdA+1], s[sgprSrdA+1], s59       // SRD base = Address+ tileStart1
s_mov_b32 s[sgprSrdA+3], Srd127_96                 // Set bits 127_96 in SRD


/* global read addresses: addresses b */

/* max read offset = size[n] * stride[n-1] */
s_mul_hi_u32 s59, s[sgprWorkGroup1], 128           // WorkGroup[01] * MT
s_mul_i32 s58, s[sgprWorkGroup1], 128              // WorkGroup[01] * MT
s_sub_u32 s[sgprShadowLimitB+0], s[sgprTensor2dSizeB], s58 // sub tileStart
s_subb_u32 s[sgprShadowLimitB+1], s[sgprTensor2dSizeB+1], s59 // sub tileStart
s_lshl_b64 s[sgprShadowLimitB:sgprShadowLimitB+1], s[sgprShadowLimitB:sgprShadowLimitB+1], 0x2 // Set limit to use bytes
s_add_u32 s[sgprShadowLimitB+0], s[sgprShadowLimitB+0], 16 // extend limit for pre-pad
s_addc_u32 s[sgprShadowLimitB+1], s[sgprShadowLimitB+1], 0 // extend limit for pre-pad
s_cmp_eq_u32 s[sgprShadowLimitB+1], 0              // are we within 2^32?
s_cselect_b32 s[sgprSrdB+2], s[sgprShadowLimitB+0], BufferLimitB // Move shadow to real if we are within 2^32
s_mul_hi_u32 s57, s[sgprStrideBK], s[sgprWorkGroup2] // Stride*WG
s_mul_i32 s56, s[sgprStrideBK], s[sgprWorkGroup2]  // Stride*WG
s_add_u32 s58, s58, s56                            // accum wg term to tilestart
s_addc_u32 s59, s59, s57                           // accum wg term to tilestart
s_lshl_b64 s[58:59], s[58:59], 0x2                 // tileStart *= BPE
s_add_u32 s[sgprSrdB+0], s[sgprSrdB+0], s58        // SRD base = Address+ tileStart0
s_addc_u32 s[sgprSrdB+1], s[sgprSrdB+1], s59       // SRD base = Address+ tileStart1
s_mov_b32 s[sgprSrdB+3], Srd127_96                 // Set bits 127_96 in SRD


/* global read addresses: increments a */

s_mul_i32 s[sgprGlobalReadIncsA+0], DepthU*BpeA, s[sgprStrideAL] // incrA unrollIdx)


/* global read addresses: increments b */

s_mul_i32 s[sgprGlobalReadIncsB+0], DepthU*BpeB, s[sgprStrideBL] // incrB unrollIdx)

/* declare loop num iterations */


s_lshr_b32 s[sgprLoopCounterL], s[sgprSizesSum+0], 5 // s[sgprLoopCounterL] = s[sgprSizesSum+0] / 32
s_mov_b32 s[sgprOrigLoopCounter], s[sgprLoopCounterL] // copy loop counter

s_and_b32 s[sgprStaggerUIter], s[sgprOrigStaggerUIter], s[sgprWorkGroup0] // Compute actual stagger start for this tile


/* SRDs += (StaggerUIter) * GlobalReadIncsA+0 */
s_mul_hi_u32 s57, s[sgprStaggerUIter], s[sgprGlobalReadIncsA+0] //  stagger byte offset
s_mul_i32 s56, s[sgprStaggerUIter], s[sgprGlobalReadIncsA+0] //  stagger byte offset
s_mul_hi_u32 s[sgprWrapUA+1], s[sgprLoopCounterL], s[sgprGlobalReadIncsA+0] // Number of bytes accessed by the unroll loop
s_mul_i32 s[sgprWrapUA+0], s[sgprLoopCounterL], s[sgprGlobalReadIncsA+0] // Number of bytes accessed by the unroll loop
s_sub_u32 s[sgprWrapUA+0], s[sgprGlobalReadIncsA+0], s[sgprWrapUA+0] // remove one iteration
s_subb_u32 s[sgprWrapUA+1], 0, s[sgprWrapUA+1]     // remove one iteration
s_add_u32 s[sgprSrdA+0], s[sgprSrdA+0], s56        // gra SRD += inc(lower)
s_addc_u32  s[sgprSrdA+1], s[sgprSrdA+1], s57      // gra SRD += inc(upper)
s_sub_u32 s[sgprShadowLimitA+0], s[sgprShadowLimitA+0], s56 // limit -= inc)
s_subb_u32 s[sgprShadowLimitA+1], s[sgprShadowLimitA+1], s57 // limit -= inc)
s_cmp_eq_u32 s[sgprShadowLimitA+1], 0              // are we within 2^32?
s_cselect_b32 s[sgprSrdA+2], s[sgprShadowLimitA+0], BufferLimitA // Move shadow to real if we are within 2^32


/* SRDs += (StaggerUIter) * GlobalReadIncsB+0 */
s_mul_hi_u32 s57, s[sgprStaggerUIter], s[sgprGlobalReadIncsB+0] //  stagger byte offset
s_mul_i32 s56, s[sgprStaggerUIter], s[sgprGlobalReadIncsB+0] //  stagger byte offset
s_mul_hi_u32 s[sgprWrapUB+1], s[sgprLoopCounterL], s[sgprGlobalReadIncsB+0] // Number of bytes accessed by the unroll loop
s_mul_i32 s[sgprWrapUB+0], s[sgprLoopCounterL], s[sgprGlobalReadIncsB+0] // Number of bytes accessed by the unroll loop
s_sub_u32 s[sgprWrapUB+0], s[sgprGlobalReadIncsB+0], s[sgprWrapUB+0] // remove one iteration
s_subb_u32 s[sgprWrapUB+1], 0, s[sgprWrapUB+1]     // remove one iteration
s_add_u32 s[sgprSrdB+0], s[sgprSrdB+0], s56        // gra SRD += inc(lower)
s_addc_u32  s[sgprSrdB+1], s[sgprSrdB+1], s57      // gra SRD += inc(upper)
s_sub_u32 s[sgprShadowLimitB+0], s[sgprShadowLimitB+0], s56 // limit -= inc)
s_subb_u32 s[sgprShadowLimitB+1], s[sgprShadowLimitB+1], s57 // limit -= inc)
s_cmp_eq_u32 s[sgprShadowLimitB+1], 0              // are we within 2^32?
s_cselect_b32 s[sgprSrdB+2], s[sgprShadowLimitB+0], BufferLimitB // Move shadow to real if we are within 2^32
s_add_u32 s[sgprStaggerUIter], s[sgprStaggerUIter], 2 // Subtract (PGR-1); StaggerUIter now contains target iteration to wrap

/* local read addresses: init pointers a */


/* local read addresses: init pointers b */


/* localReadInitPointers */


/* prefetch: global -> local */

s_cmp_eq_u32 s[sgprLoopCounterL], 0                // at last iteration?
s_setprio 0                                        // optimization store
s_cbranch_scc1 ShadowInitStart_10                  // skip to ShadowInitStart iter b/c numIter==0


_buffer_load_b128 v[vgprG2LB+0:vgprG2LB+0+3], v[vgprGlobalReadOffsetB+0], s[sgprSrdB:sgprSrdB+3], 0, offen offset:0 // G -> Reg 0_0_0_0
_buffer_load_b128 v[vgprG2LB+4:vgprG2LB+4+3], v[vgprGlobalReadOffsetB+1], s[sgprSrdB:sgprSrdB+3], 0, offen offset:0 // G -> Reg 0_0_1_0
_buffer_load_b128 v[vgprG2LB+8:vgprG2LB+8+3], v[vgprGlobalReadOffsetB+2], s[sgprSrdB:sgprSrdB+3], 0, offen offset:0 // G -> Reg 0_0_2_0
_buffer_load_b128 v[vgprG2LB+12:vgprG2LB+12+3], v[vgprGlobalReadOffsetB+3], s[sgprSrdB:sgprSrdB+3], 0, offen offset:0 // G -> Reg 0_0_3_0


_buffer_load_b32 v[vgprG2LA0+0], v[vgprGlobalReadOffsetA+0], s[sgprSrdA:sgprSrdA+3], 0, offen offset:0 // G -> Reg 0_0_0_0
_buffer_load_b32 v[vgprG2LA0+1], v[vgprGlobalReadOffsetA+1], s[sgprSrdA:sgprSrdA+3], 0, offen offset:0 // G -> Reg 1_0_0_0
_buffer_load_b32 v[vgprG2LA0+2], v[vgprGlobalReadOffsetA+2], s[sgprSrdA:sgprSrdA+3], 0, offen offset:0 // G -> Reg 0_0_1_0
_buffer_load_b32 v[vgprG2LA0+3], v[vgprGlobalReadOffsetA+3], s[sgprSrdA:sgprSrdA+3], 0, offen offset:0 // G -> Reg 1_0_1_0
_buffer_load_b32 v[vgprG2LA0+4], v[vgprGlobalReadOffsetA+4], s[sgprSrdA:sgprSrdA+3], 0, offen offset:0 // G -> Reg 0_0_2_0
_buffer_load_b32 v[vgprG2LA0+5], v[vgprGlobalReadOffsetA+5], s[sgprSrdA:sgprSrdA+3], 0, offen offset:0 // G -> Reg 1_0_2_0
_buffer_load_b32 v[vgprG2LA0+6], v[vgprGlobalReadOffsetA+6], s[sgprSrdA:sgprSrdA+3], 0, offen offset:0 // G -> Reg 0_0_3_0
_buffer_load_b32 v[vgprG2LA0+7], v[vgprGlobalReadOffsetA+7], s[sgprSrdA:sgprSrdA+3], 0, offen offset:0 // G -> Reg 1_0_3_0
_buffer_load_b32 v[vgprG2LA0+8], v[vgprGlobalReadOffsetA+8], s[sgprSrdA:sgprSrdA+3], 0, offen offset:0 // G -> Reg 0_0_4_0
_buffer_load_b32 v[vgprG2LA0+9], v[vgprGlobalReadOffsetA+9], s[sgprSrdA:sgprSrdA+3], 0, offen offset:0 // G -> Reg 1_0_4_0
_buffer_load_b32 v[vgprG2LA0+10], v[vgprGlobalReadOffsetA+10], s[sgprSrdA:sgprSrdA+3], 0, offen offset:0 // G -> Reg 0_0_5_0
_buffer_load_b32 v[vgprG2LA0+11], v[vgprGlobalReadOffsetA+11], s[sgprSrdA:sgprSrdA+3], 0, offen offset:0 // G -> Reg 1_0_5_0
_buffer_load_b32 v[vgprG2LA0+12], v[vgprGlobalReadOffsetA+12], s[sgprSrdA:sgprSrdA+3], 0, offen offset:0 // G -> Reg 0_0_6_0
_buffer_load_b32 v[vgprG2LA0+13], v[vgprGlobalReadOffsetA+13], s[sgprSrdA:sgprSrdA+3], 0, offen offset:0 // G -> Reg 1_0_6_0
_buffer_load_b32 v[vgprG2LA0+14], v[vgprGlobalReadOffsetA+14], s[sgprSrdA:sgprSrdA+3], 0, offen offset:0 // G -> Reg 0_0_7_0
_buffer_load_b32 v[vgprG2LA0+15], v[vgprGlobalReadOffsetA+15], s[sgprSrdA:sgprSrdA+3], 0, offen offset:0 // G -> Reg 1_0_7_0


/* global read inc A loopL */
s_add_u32 s58, s[sgprLoopCounterL], 1              // remove pf(1)
s_cmp_eq_u32 s[sgprStaggerUIter], s58              // Is this wrapIter? (pf)
s_cselect_b32 s56, s[sgprWrapUA+0], s[sgprGlobalReadIncsA+0] // incLower <- ?
s_cselect_b32 s57, s[sgprWrapUA+1], 0              // incUpper <- ?
s_add_u32 s[sgprSrdA+0], s[sgprSrdA+0], s56        // gra SRD += inc(lower)
s_addc_u32  s[sgprSrdA+1], s[sgprSrdA+1], s57      // gra SRD += inc(upper)
s_sub_u32 s[sgprShadowLimitA+0], s[sgprShadowLimitA+0], s56 // limit -= inc)
s_subb_u32 s[sgprShadowLimitA+1], s[sgprShadowLimitA+1], s57 // limit -= inc)
s_cmp_eq_u32 s[sgprShadowLimitA+1], 0              // are we within 2^32?
s_cselect_b32 s[sgprSrdA+2], s[sgprShadowLimitA+0], BufferLimitA // Move shadow to real if we are within 2^32

/* global read inc B loopL */
s_add_u32 s58, s[sgprLoopCounterL], 1              // remove pf(1)
s_cmp_eq_u32 s[sgprStaggerUIter], s58              // Is this wrapIter? (pf)
s_cselect_b32 s56, s[sgprWrapUB+0], s[sgprGlobalReadIncsB+0] // incLower <- ?
s_cselect_b32 s57, s[sgprWrapUB+1], 0              // incUpper <- ?
s_add_u32 s[sgprSrdB+0], s[sgprSrdB+0], s56        // gra SRD += inc(lower)
s_addc_u32  s[sgprSrdB+1], s[sgprSrdB+1], s57      // gra SRD += inc(upper)
s_sub_u32 s[sgprShadowLimitB+0], s[sgprShadowLimitB+0], s56 // limit -= inc)
s_subb_u32 s[sgprShadowLimitB+1], s[sgprShadowLimitB+1], s57 // limit -= inc)
s_cmp_eq_u32 s[sgprShadowLimitB+1], 0              // are we within 2^32?
s_cselect_b32 s[sgprSrdB+2], s[sgprShadowLimitB+0], BufferLimitB // Move shadow to real if we are within 2^32


/******************************************/
/* End setupNewTile, isPap=False             */
/******************************************/

ShadowInitStart_10: // 

s_mov_b32 s[sgprSrdD+2], BufferOOB                 // 
s_mov_b32 s[sgprSrdD+3], Srd127_96                 // Set bits 127_96 in post-loop SRD

s_mov_b32 s[sgprSrdC+2], BufferOOB                 // 
s_mov_b32 s[sgprSrdC+3], Srd127_96                 // Set bits 127_96 in post-loop SRD


s_mul_i32 s56, MT1, s[sgprWorkGroup1]              // <- wg1*MT1
s_mul_hi_u32 s55, s56, s[sgprStrideC1J]            // CScale s56 by Stride
s_mul_i32 s54, s56, s[sgprStrideC1J]               // CScale s56 by Stride
s_lshl_b64 s[54:55], s[54:55], 2                   // scale by bpe
s_add_u32 s[sgprSrdC+0], s[sgprSrdC+0], s54        // add lo to SRD
s_addc_u32 s[sgprSrdC+1], s[sgprSrdC+1], s55       // add hi to SRD
s_mul_hi_u32 s55, s56, s[sgprStrideD1J]            // Scale s56 by Stride
s_mul_i32 s54, s56, s[sgprStrideD1J]               // Scale s56 by Stride
s_lshl_b64 s[54:55], s[54:55], 2                   // scale by bpe
s_add_u32 s[sgprSrdD+0], s[sgprSrdD+0], s54        // add lo to SRD
s_addc_u32 s[sgprSrdD+1], s[sgprSrdD+1], s55       // add hi to SRD

s_mul_hi_u32 s55, s[sgprWorkGroup2], s[sgprStrideCK] // CScale s[sgprWorkGroup2] by Stride
s_mul_i32 s54, s[sgprWorkGroup2], s[sgprStrideCK]  // CScale s[sgprWorkGroup2] by Stride
s_lshl_b64 s[54:55], s[54:55], 2                   // scale by bpe
s_add_u32 s[sgprSrdC+0], s[sgprSrdC+0], s54        // add lo to SRD
s_addc_u32 s[sgprSrdC+1], s[sgprSrdC+1], s55       // add hi to SRD
s_mul_hi_u32 s55, s[sgprWorkGroup2], s[sgprStrideDK] // Scale s[sgprWorkGroup2] by Stride
s_mul_i32 s54, s[sgprWorkGroup2], s[sgprStrideDK]  // Scale s[sgprWorkGroup2] by Stride
s_lshl_b64 s[54:55], s[54:55], 2                   // scale by bpe
s_add_u32 s[sgprSrdD+0], s[sgprSrdD+0], s54        // add lo to SRD
s_addc_u32 s[sgprSrdD+1], s[sgprSrdD+1], s55       // add hi to SRD


	;; [unrolled: 1-line block ×3, first 2 shown]
/* initC: remove C-tile 0-64 from pool */

/* initC: remove AB-tile 64-128 from pool */
v_mov_b64 v[vgprValuC+0:vgprValuC+0+1], 0x0        // initC
v_mov_b64 v[vgprValuC+2:vgprValuC+2+1], 0x0        // initC
	;; [unrolled: 1-line block ×5, first 2 shown]
v_mov_b64 v[vgprValuC+10:vgprValuC+10+1], 0x0      // initC
v_mov_b64 v[vgprValuC+12:vgprValuC+12+1], 0x0      // initC
v_mov_b64 v[vgprValuC+14:vgprValuC+14+1], 0x0      // initC
v_mov_b64 v[vgprValuC+16:vgprValuC+16+1], 0x0      // initC
v_mov_b64 v[vgprValuC+18:vgprValuC+18+1], 0x0      // initC
v_mov_b64 v[vgprValuC+20:vgprValuC+20+1], 0x0      // initC
v_mov_b64 v[vgprValuC+22:vgprValuC+22+1], 0x0      // initC
v_mov_b64 v[vgprValuC+24:vgprValuC+24+1], 0x0      // initC
v_mov_b64 v[vgprValuC+26:vgprValuC+26+1], 0x0      // initC
v_mov_b64 v[vgprValuC+28:vgprValuC+28+1], 0x0      // initC
v_mov_b64 v[vgprValuC+30:vgprValuC+30+1], 0x0      // initC
v_mov_b64 v[vgprValuC+32:vgprValuC+32+1], 0x0      // initC
v_mov_b64 v[vgprValuC+34:vgprValuC+34+1], 0x0      // initC
v_mov_b64 v[vgprValuC+36:vgprValuC+36+1], 0x0      // initC
v_mov_b64 v[vgprValuC+38:vgprValuC+38+1], 0x0      // initC
v_mov_b64 v[vgprValuC+40:vgprValuC+40+1], 0x0      // initC
v_mov_b64 v[vgprValuC+42:vgprValuC+42+1], 0x0      // initC
v_mov_b64 v[vgprValuC+44:vgprValuC+44+1], 0x0      // initC
v_mov_b64 v[vgprValuC+46:vgprValuC+46+1], 0x0      // initC
v_mov_b64 v[vgprValuC+48:vgprValuC+48+1], 0x0      // initC
v_mov_b64 v[vgprValuC+50:vgprValuC+50+1], 0x0      // initC
v_mov_b64 v[vgprValuC+52:vgprValuC+52+1], 0x0      // initC
v_mov_b64 v[vgprValuC+54:vgprValuC+54+1], 0x0      // initC
v_mov_b64 v[vgprValuC+56:vgprValuC+56+1], 0x0      // initC
v_mov_b64 v[vgprValuC+58:vgprValuC+58+1], 0x0      // initC
v_mov_b64 v[vgprValuC+60:vgprValuC+60+1], 0x0      // initC
v_mov_b64 v[vgprValuC+62:vgprValuC+62+1], 0x0      // initC

s_cmp_eq_u32 s[sgprLoopCounterL], 0                // at last iteration?

/* after InitC, skip to end of prefetch last iter if numIter==0 */
s_cbranch_scc0 label_NoBranch_11                   // Only branch on scc1
s_getpc_B64 s[54:55]                               // addr of next instr
s_add_i32 s56, PrefetchGlobalLastIterEnd_5, 0x4    // target branch offset
s_add_u32 s54, s54, s56                            // add target branch offset
s_addc_u32 s55, s55, 0                             // add high and carry
s_setpc_b64 s[54:55]                               // branch to PrefetchGlobalLastIterEnd_5
label_NoBranch_11:

s_waitcnt vmcnt(16)                                // lgkmcnt=-1 vmcnt=16 8wait for global read


/* local write a */

/* local write b */
_ds_store_b128 v[vgprLocalWriteAddrB], v[vgprG2LB+0:vgprG2LB+0+3] offset:0 // lwoB_0_0_0_0 = (0*LSCB) + (0*LSPB)(*MT1J+PAD) = 0
_ds_store_b128 v[vgprLocalWriteAddrB], v[vgprG2LB+4:vgprG2LB+4+3] offset:1152 // lwoB_0_0_1_0 = (0*LSCB) + (1*LSPB)(*MT1J+PAD) = 1152
_ds_store_b128 v[vgprLocalWriteAddrB], v[vgprG2LB+8:vgprG2LB+8+3] offset:2304 // lwoB_0_0_2_0 = (0*LSCB) + (2*LSPB)(*MT1J+PAD) = 2304
_ds_store_b128 v[vgprLocalWriteAddrB], v[vgprG2LB+12:vgprG2LB+12+3] offset:3456 // lwoB_0_0_3_0 = (0*LSCB) + (3*LSPB)(*MT1J+PAD) = 3456


/* local write swap a */


	;; [unrolled: 1-line block ×3, first 2 shown]
/* local write swap b */




s_cmp_eq_u32 s[sgprLoopCounterL] 0x1               // PGR=2 but only 1 loop
s_cbranch_scc1 label_0012                          // PGR=2 but only 1 loop


_buffer_load_b128 v[vgprG2LB+0:vgprG2LB+0+3], v[vgprGlobalReadOffsetB+0], s[sgprSrdB:sgprSrdB+3], 0, offen offset:0 // G -> Reg 0_0_0_0
_buffer_load_b128 v[vgprG2LB+4:vgprG2LB+4+3], v[vgprGlobalReadOffsetB+1], s[sgprSrdB:sgprSrdB+3], 0, offen offset:0 // G -> Reg 0_0_1_0
_buffer_load_b128 v[vgprG2LB+8:vgprG2LB+8+3], v[vgprGlobalReadOffsetB+2], s[sgprSrdB:sgprSrdB+3], 0, offen offset:0 // G -> Reg 0_0_2_0
_buffer_load_b128 v[vgprG2LB+12:vgprG2LB+12+3], v[vgprGlobalReadOffsetB+3], s[sgprSrdB:sgprSrdB+3], 0, offen offset:0 // G -> Reg 0_0_3_0


_buffer_load_b32 v[vgprG2LA1+0], v[vgprGlobalReadOffsetA+0], s[sgprSrdA:sgprSrdA+3], 0, offen offset:0 // G -> Reg 0_0_0_0
_buffer_load_b32 v[vgprG2LA1+1], v[vgprGlobalReadOffsetA+1], s[sgprSrdA:sgprSrdA+3], 0, offen offset:0 // G -> Reg 1_0_0_0
_buffer_load_b32 v[vgprG2LA1+2], v[vgprGlobalReadOffsetA+2], s[sgprSrdA:sgprSrdA+3], 0, offen offset:0 // G -> Reg 0_0_1_0
_buffer_load_b32 v[vgprG2LA1+3], v[vgprGlobalReadOffsetA+3], s[sgprSrdA:sgprSrdA+3], 0, offen offset:0 // G -> Reg 1_0_1_0
_buffer_load_b32 v[vgprG2LA1+4], v[vgprGlobalReadOffsetA+4], s[sgprSrdA:sgprSrdA+3], 0, offen offset:0 // G -> Reg 0_0_2_0
_buffer_load_b32 v[vgprG2LA1+5], v[vgprGlobalReadOffsetA+5], s[sgprSrdA:sgprSrdA+3], 0, offen offset:0 // G -> Reg 1_0_2_0
_buffer_load_b32 v[vgprG2LA1+6], v[vgprGlobalReadOffsetA+6], s[sgprSrdA:sgprSrdA+3], 0, offen offset:0 // G -> Reg 0_0_3_0
_buffer_load_b32 v[vgprG2LA1+7], v[vgprGlobalReadOffsetA+7], s[sgprSrdA:sgprSrdA+3], 0, offen offset:0 // G -> Reg 1_0_3_0
_buffer_load_b32 v[vgprG2LA1+8], v[vgprGlobalReadOffsetA+8], s[sgprSrdA:sgprSrdA+3], 0, offen offset:0 // G -> Reg 0_0_4_0
_buffer_load_b32 v[vgprG2LA1+9], v[vgprGlobalReadOffsetA+9], s[sgprSrdA:sgprSrdA+3], 0, offen offset:0 // G -> Reg 1_0_4_0
_buffer_load_b32 v[vgprG2LA1+10], v[vgprGlobalReadOffsetA+10], s[sgprSrdA:sgprSrdA+3], 0, offen offset:0 // G -> Reg 0_0_5_0
_buffer_load_b32 v[vgprG2LA1+11], v[vgprGlobalReadOffsetA+11], s[sgprSrdA:sgprSrdA+3], 0, offen offset:0 // G -> Reg 1_0_5_0
_buffer_load_b32 v[vgprG2LA1+12], v[vgprGlobalReadOffsetA+12], s[sgprSrdA:sgprSrdA+3], 0, offen offset:0 // G -> Reg 0_0_6_0
_buffer_load_b32 v[vgprG2LA1+13], v[vgprGlobalReadOffsetA+13], s[sgprSrdA:sgprSrdA+3], 0, offen offset:0 // G -> Reg 1_0_6_0
_buffer_load_b32 v[vgprG2LA1+14], v[vgprGlobalReadOffsetA+14], s[sgprSrdA:sgprSrdA+3], 0, offen offset:0 // G -> Reg 0_0_7_0
_buffer_load_b32 v[vgprG2LA1+15], v[vgprGlobalReadOffsetA+15], s[sgprSrdA:sgprSrdA+3], 0, offen offset:0 // G -> Reg 1_0_7_0

label_0012:                                        // 

s_waitcnt lgkmcnt(0)                               // lgkmcnt=0 vmcnt=-10prefetch wait for local write

// Skip force waitcnt0
s_barrier //


/* local read prefetch a */


	;; [unrolled: 1-line block ×3, first 2 shown]
/* local read prefetch b */

_ds_load_b32 v[vgprValuB_X0_I0+0], v[vgprLocalReadAddrB] offset:0 // L -> Reg lro=0 swapByteOffset=0 ti=16 vIdx=0 rIdx=0 oIdx=0 buffer=0 iui=0
_ds_load_b32 v[vgprValuB_X0_I0+1], v[vgprLocalReadAddrB] offset:64 // L -> Reg lro=0 swapByteOffset=0 ti=16 vIdx=1 rIdx=0 oIdx=0 buffer=0 iui=0
	;; [unrolled: 1-line block ×8, first 2 shown]


/* local read inc a */


	;; [unrolled: 1-line block ×3, first 2 shown]
/* local read inc b */

/* N/A, lro->576 */
/* self.localReadDoCntA 1 self.localReadDoCntB 1 */


	;; [unrolled: 1-line block ×3, first 2 shown]
/******************************************/
/* Unrolled Loop(s) - Begin               */
/******************************************/

openLoopL_13:
s_cmp_eq_u32 s[sgprLoopCounterL], 0x1              // LoopCounterL < EndCounter
s_cbranch_scc1 label_0014                          // PGR=2 but only 1 loop, toPGR1
s_cmp_le_u32 s[sgprLoopCounterL], 0x2              // LoopCounterL < EndCounter
s_cbranch_scc1 LoopEndL_evenexit_4                 // do not enter LoopL
LoopBeginL_1:


/******************************************/
/* Unrolled Loop 1/2 - Begin              */
/******************************************/

label_0015: // LoopCopy1 


/* Begin Each Unroll: Check VGPR.checkin for INT8 LW */


	;; [unrolled: 1-line block ×3, first 2 shown]
/* iter 0 */

s_waitcnt vmcnt(34)                                // lgkmcnt=-1 vmcnt=34global read wait for DirectToVgpr

/*  grEndMfmaIndex:6, lwStartMfmaIndex:92, lwEndMfmaIndex:111  */
/*  numMfmaForLR:6, barrierMfmaIndex:121, LocalWritePerMfma:0.165 */
/*  mfmaIndex:0  */
s_waitcnt lgkmcnt(0)                               // lgkmcnt=0 vmcnt=-1wait for prior local read local write old=0, new=0 newLW=0 newLR=0
v_mfma_f32_16x16x4_f32 v[0+0:3+0], v[vgprG2LA+0+0], v[vgprValuB_X0_I0+0+0+0], v[0:3]
/*  mfmaIndex:1  */
_ds_load_b32 v[vgprValuB_X1_I0+0], v[vgprLocalReadAddrB] offset:2304 // L -> Reg lro=576 swapByteOffset=0 ti=16 vIdx=0 rIdx=0 oIdx=0 buffer=1 iui=0
_ds_load_b32 v[vgprValuB_X1_I0+1], v[vgprLocalReadAddrB] offset:2368 // L -> Reg lro=576 swapByteOffset=0 ti=16 vIdx=1 rIdx=0 oIdx=0 buffer=1 iui=0

/* global read inc B loopL */
s_cmp_eq_u32 s[sgprLoopCounterL], s[sgprStaggerUIter] // Is this the wrapIter?
s_cselect_b32 s54, s[sgprWrapUB+0], s[sgprGlobalReadIncsB+0] // incLower <- ?
s_cselect_b32 s55, s[sgprWrapUB+1], 0              // incUpper <- ?
v_mfma_f32_16x16x4_f32 v[8+0:11+0], v[vgprG2LA+0+0], v[vgprValuB_X0_I0+1+0+0], v[8:11]
/*  mfmaIndex:2  */
_ds_load_b32 v[vgprValuB_X1_I0+2], v[vgprLocalReadAddrB] offset:2432 // L -> Reg lro=576 swapByteOffset=0 ti=16 vIdx=2 rIdx=0 oIdx=0 buffer=1 iui=0
_ds_load_b32 v[vgprValuB_X1_I0+3], v[vgprLocalReadAddrB] offset:2496 // L -> Reg lro=576 swapByteOffset=0 ti=16 vIdx=3 rIdx=0 oIdx=0 buffer=1 iui=0
s_add_u32 s[sgprSrdB+0], s[sgprSrdB+0], s54        // gra SRD += inc(lower)
s_addc_u32  s[sgprSrdB+1], s[sgprSrdB+1], s55      // gra SRD += inc(upper)
s_sub_u32 s[sgprShadowLimitB+0], s[sgprShadowLimitB+0], s54 // limit -= inc)
v_mfma_f32_16x16x4_f32 v[16+0:19+0], v[vgprG2LA+0+0], v[vgprValuB_X0_I0+2+0+0], v[16:19]
/*  mfmaIndex:3  */
_ds_load_b32 v[vgprValuB_X1_I0+4], v[vgprLocalReadAddrB] offset:2560 // L -> Reg lro=576 swapByteOffset=0 ti=16 vIdx=4 rIdx=0 oIdx=0 buffer=1 iui=0
_ds_load_b32 v[vgprValuB_X1_I0+5], v[vgprLocalReadAddrB] offset:2624 // L -> Reg lro=576 swapByteOffset=0 ti=16 vIdx=5 rIdx=0 oIdx=0 buffer=1 iui=0
s_subb_u32 s[sgprShadowLimitB+1], s[sgprShadowLimitB+1], s55 // limit -= inc)
s_cmp_eq_u32 s[sgprShadowLimitB+1], 0              // are we within 2^32?
s_cselect_b32 s[sgprSrdB+2], s[sgprShadowLimitB+0], BufferLimitB // Move shadow to real if we are within 2^32
v_mfma_f32_16x16x4_f32 v[24+0:27+0], v[vgprG2LA+0+0], v[vgprValuB_X0_I0+3+0+0], v[24:27]
/*  mfmaIndex:4  */
_ds_load_b32 v[vgprValuB_X1_I0+6], v[vgprLocalReadAddrB] offset:2688 // L -> Reg lro=576 swapByteOffset=0 ti=16 vIdx=6 rIdx=0 oIdx=0 buffer=1 iui=0
_ds_load_b32 v[vgprValuB_X1_I0+7], v[vgprLocalReadAddrB] offset:2752 // L -> Reg lro=576 swapByteOffset=0 ti=16 vIdx=7 rIdx=0 oIdx=0 buffer=1 iui=0
/* localReadsVacancy: latencyLeft 1 */

/* global read inc A loopL */
s_cmp_eq_u32 s[sgprLoopCounterL], s[sgprStaggerUIter] // Is this the wrapIter?
s_cselect_b32 s54, s[sgprWrapUA+0], s[sgprGlobalReadIncsA+0] // incLower <- ?
s_cselect_b32 s55, s[sgprWrapUA+1], 0              // incUpper <- ?
v_mfma_f32_16x16x4_f32 v[32+0:35+0], v[vgprG2LA+0+0], v[vgprValuB_X0_I0+4+0+0], v[32:35]
/*  mfmaIndex:5  */
/* localReadsVacancy: latencyLeft 5 */
_ds_load_b32 v[vgprValuB_X2_I0+0], v[vgprLocalReadAddrB] offset:4608 // L -> Reg lro=1152 swapByteOffset=0 ti=16 vIdx=0 rIdx=0 oIdx=0 buffer=2 iui=0
_ds_load_b32 v[vgprValuB_X2_I0+1], v[vgprLocalReadAddrB] offset:4672 // L -> Reg lro=1152 swapByteOffset=0 ti=16 vIdx=1 rIdx=0 oIdx=0 buffer=2 iui=0
s_add_u32 s[sgprSrdA+0], s[sgprSrdA+0], s54        // gra SRD += inc(lower)
s_addc_u32  s[sgprSrdA+1], s[sgprSrdA+1], s55      // gra SRD += inc(upper)
s_sub_u32 s[sgprShadowLimitA+0], s[sgprShadowLimitA+0], s54 // limit -= inc)
v_mfma_f32_16x16x4_f32 v[40+0:43+0], v[vgprG2LA+0+0], v[vgprValuB_X0_I0+5+0+0], v[40:43]
/*  mfmaIndex:6  */
/* localReadsVacancy: latencyLeft 5 */
_ds_load_b32 v[vgprValuB_X2_I0+2], v[vgprLocalReadAddrB] offset:4736 // L -> Reg lro=1152 swapByteOffset=0 ti=16 vIdx=2 rIdx=0 oIdx=0 buffer=2 iui=0
_ds_load_b32 v[vgprValuB_X2_I0+3], v[vgprLocalReadAddrB] offset:4800 // L -> Reg lro=1152 swapByteOffset=0 ti=16 vIdx=3 rIdx=0 oIdx=0 buffer=2 iui=0
s_subb_u32 s[sgprShadowLimitA+1], s[sgprShadowLimitA+1], s55 // limit -= inc)
s_cmp_eq_u32 s[sgprShadowLimitA+1], 0              // are we within 2^32?
s_cselect_b32 s[sgprSrdA+2], s[sgprShadowLimitA+0], BufferLimitA // Move shadow to real if we are within 2^32
v_mfma_f32_16x16x4_f32 v[48+0:51+0], v[vgprG2LA+0+0], v[vgprValuB_X0_I0+6+0+0], v[48:51]
/*  mfmaIndex:7  */
/* localReadsVacancy: latencyLeft 5 */
_ds_load_b32 v[vgprValuB_X2_I0+4], v[vgprLocalReadAddrB] offset:4864 // L -> Reg lro=1152 swapByteOffset=0 ti=16 vIdx=4 rIdx=0 oIdx=0 buffer=2 iui=0
_ds_load_b32 v[vgprValuB_X2_I0+5], v[vgprLocalReadAddrB] offset:4928 // L -> Reg lro=1152 swapByteOffset=0 ti=16 vIdx=5 rIdx=0 oIdx=0 buffer=2 iui=0
v_mfma_f32_16x16x4_f32 v[56+0:59+0], v[vgprG2LA+0+0], v[vgprValuB_X0_I0+7+0+0], v[56:59]
/*  mfmaIndex:8  */
/* localReadsVacancy: latencyLeft 5 */
_ds_load_b32 v[vgprValuB_X2_I0+6], v[vgprLocalReadAddrB] offset:4992 // L -> Reg lro=1152 swapByteOffset=0 ti=16 vIdx=6 rIdx=0 oIdx=0 buffer=2 iui=0
_ds_load_b32 v[vgprValuB_X2_I0+7], v[vgprLocalReadAddrB] offset:5056 // L -> Reg lro=1152 swapByteOffset=0 ti=16 vIdx=7 rIdx=0 oIdx=0 buffer=2 iui=0
v_mfma_f32_16x16x4_f32 v[60+0:63+0], v[vgprG2LA+1+0], v[vgprValuB_X0_I0+7+0+0], v[60:63]
/*  mfmaIndex:9  */
/* localReadsVacancy: latencyLeft 5 */
_ds_load_b32 v[vgprValuB_X3_I0+0], v[vgprLocalReadAddrB] offset:6912 // L -> Reg lro=1728 swapByteOffset=0 ti=16 vIdx=0 rIdx=0 oIdx=0 buffer=3 iui=0
_ds_load_b32 v[vgprValuB_X3_I0+1], v[vgprLocalReadAddrB] offset:6976 // L -> Reg lro=1728 swapByteOffset=0 ti=16 vIdx=1 rIdx=0 oIdx=0 buffer=3 iui=0
v_mfma_f32_16x16x4_f32 v[52+0:55+0], v[vgprG2LA+1+0], v[vgprValuB_X0_I0+6+0+0], v[52:55]
/*  mfmaIndex:10  */
/* localReadsVacancy: latencyLeft 5 */
_ds_load_b32 v[vgprValuB_X3_I0+2], v[vgprLocalReadAddrB] offset:7040 // L -> Reg lro=1728 swapByteOffset=0 ti=16 vIdx=2 rIdx=0 oIdx=0 buffer=3 iui=0
_ds_load_b32 v[vgprValuB_X3_I0+3], v[vgprLocalReadAddrB] offset:7104 // L -> Reg lro=1728 swapByteOffset=0 ti=16 vIdx=3 rIdx=0 oIdx=0 buffer=3 iui=0
	;; [unrolled: 5-line block ×4, first 2 shown]
v_mfma_f32_16x16x4_f32 v[28+0:31+0], v[vgprG2LA+1+0], v[vgprValuB_X0_I0+3+0+0], v[28:31]
/*  mfmaIndex:13  */
/* localReadsVacancy: latencyLeft 5 */
_ds_load_b32 v[vgprValuB_X4_I0+0], v[vgprLocalReadAddrB] offset:9216 // L -> Reg lro=2304 swapByteOffset=0 ti=16 vIdx=0 rIdx=0 oIdx=0 buffer=4 iui=0
_ds_load_b32 v[vgprValuB_X4_I0+1], v[vgprLocalReadAddrB] offset:9280 // L -> Reg lro=2304 swapByteOffset=0 ti=16 vIdx=1 rIdx=0 oIdx=0 buffer=4 iui=0
v_mfma_f32_16x16x4_f32 v[20+0:23+0], v[vgprG2LA+1+0], v[vgprValuB_X0_I0+2+0+0], v[20:23]
/*  mfmaIndex:14  */
/* localReadsVacancy: latencyLeft 5 */
_ds_load_b32 v[vgprValuB_X4_I0+2], v[vgprLocalReadAddrB] offset:9344 // L -> Reg lro=2304 swapByteOffset=0 ti=16 vIdx=2 rIdx=0 oIdx=0 buffer=4 iui=0
_ds_load_b32 v[vgprValuB_X4_I0+3], v[vgprLocalReadAddrB] offset:9408 // L -> Reg lro=2304 swapByteOffset=0 ti=16 vIdx=3 rIdx=0 oIdx=0 buffer=4 iui=0
	;; [unrolled: 5-line block ×3, first 2 shown]
v_mfma_f32_16x16x4_f32 v[4+0:7+0], v[vgprG2LA+1+0], v[vgprValuB_X0_I0+0+0+0], v[4:7]
/* numPrefetchIter=0 */
/* dataAtIterA=-1 numReadsIterA=1 skipReadsIterA=1 readsPerIterA=2 */
/* dataAtIterB=-1 numReadsIterB=1 skipReadsIterB=1 readsPerIterB=8 */


/* iter 1 */

s_waitcnt vmcnt(32)                                // lgkmcnt=-1 vmcnt=32global read wait for DirectToVgpr

/*  grEndMfmaIndex:6, lwStartMfmaIndex:92, lwEndMfmaIndex:111  */
/*  numMfmaForLR:6, barrierMfmaIndex:121, LocalWritePerMfma:0.165 */
/*  mfmaIndex:16  */
/* localReadsVacancy: latencyLeft 5 */
_ds_load_b32 v[vgprValuB_X4_I0+6], v[vgprLocalReadAddrB] offset:9600 // L -> Reg lro=2304 swapByteOffset=0 ti=16 vIdx=6 rIdx=0 oIdx=0 buffer=4 iui=0
_ds_load_b32 v[vgprValuB_X4_I0+7], v[vgprLocalReadAddrB] offset:9664 // L -> Reg lro=2304 swapByteOffset=0 ti=16 vIdx=7 rIdx=0 oIdx=0 buffer=4 iui=0
s_waitcnt lgkmcnt(15)                              // lgkmcnt=0 vmcnt=-1wait for prior local read local write old=8, new=8 newLW=0 newLR=0
v_mfma_f32_16x16x4_f32 v[0+0:3+0], v[vgprG2LA+2+0], v[vgprValuB_X1_I0+0+0+0], v[0:3]
/*  mfmaIndex:17  */
/* localReadsVacancy: latencyLeft 5 */
_ds_load_b32 v[vgprValuB_X5_I0+0], v[vgprLocalReadAddrB] offset:11520 // L -> Reg lro=2880 swapByteOffset=0 ti=16 vIdx=0 rIdx=0 oIdx=0 buffer=5 iui=0
_ds_load_b32 v[vgprValuB_X5_I0+1], v[vgprLocalReadAddrB] offset:11584 // L -> Reg lro=2880 swapByteOffset=0 ti=16 vIdx=1 rIdx=0 oIdx=0 buffer=5 iui=0
v_mfma_f32_16x16x4_f32 v[8+0:11+0], v[vgprG2LA+2+0], v[vgprValuB_X1_I0+1+0+0], v[8:11]
/*  mfmaIndex:18  */
/* localReadsVacancy: latencyLeft 5 */
_ds_load_b32 v[vgprValuB_X5_I0+2], v[vgprLocalReadAddrB] offset:11648 // L -> Reg lro=2880 swapByteOffset=0 ti=16 vIdx=2 rIdx=0 oIdx=0 buffer=5 iui=0
_ds_load_b32 v[vgprValuB_X5_I0+3], v[vgprLocalReadAddrB] offset:11712 // L -> Reg lro=2880 swapByteOffset=0 ti=16 vIdx=3 rIdx=0 oIdx=0 buffer=5 iui=0
	;; [unrolled: 5-line block ×4, first 2 shown]
v_mfma_f32_16x16x4_f32 v[32+0:35+0], v[vgprG2LA+2+0], v[vgprValuB_X1_I0+4+0+0], v[32:35]
/*  mfmaIndex:21  */
/* localReadsVacancy: latencyLeft 5 */
_ds_load_b32 v[vgprValuB_X6_I0+0], v[vgprLocalReadAddrB] offset:13824 // L -> Reg lro=3456 swapByteOffset=0 ti=16 vIdx=0 rIdx=0 oIdx=0 buffer=6 iui=0
_ds_load_b32 v[vgprValuB_X6_I0+1], v[vgprLocalReadAddrB] offset:13888 // L -> Reg lro=3456 swapByteOffset=0 ti=16 vIdx=1 rIdx=0 oIdx=0 buffer=6 iui=0
v_mfma_f32_16x16x4_f32 v[40+0:43+0], v[vgprG2LA+2+0], v[vgprValuB_X1_I0+5+0+0], v[40:43]
/*  mfmaIndex:22  */
/* localReadsVacancy: latencyLeft 5 */
_ds_load_b32 v[vgprValuB_X6_I0+2], v[vgprLocalReadAddrB] offset:13952 // L -> Reg lro=3456 swapByteOffset=0 ti=16 vIdx=2 rIdx=0 oIdx=0 buffer=6 iui=0
_ds_load_b32 v[vgprValuB_X6_I0+3], v[vgprLocalReadAddrB] offset:14016 // L -> Reg lro=3456 swapByteOffset=0 ti=16 vIdx=3 rIdx=0 oIdx=0 buffer=6 iui=0
v_mfma_f32_16x16x4_f32 v[48+0:51+0], v[vgprG2LA+2+0], v[vgprValuB_X1_I0+6+0+0], v[48:51]
/*  mfmaIndex:23  */
/* localReadsVacancy: latencyLeft 5 */
_ds_load_b32 v[vgprValuB_X6_I0+4], v[vgprLocalReadAddrB] offset:14080 // L -> Reg lro=3456 swapByteOffset=0 ti=16 vIdx=4 rIdx=0 oIdx=0 buffer=6 iui=0
_ds_load_b32 v[vgprValuB_X6_I0+5], v[vgprLocalReadAddrB] offset:14144 // L -> Reg lro=3456 swapByteOffset=0 ti=16 vIdx=5 rIdx=0 oIdx=0 buffer=6 iui=0
v_mfma_f32_16x16x4_f32 v[56+0:59+0], v[vgprG2LA+2+0], v[vgprValuB_X1_I0+7+0+0], v[56:59]
/*  mfmaIndex:24  */
/* localReadsVacancy: latencyLeft 5 */
_ds_load_b32 v[vgprValuB_X6_I0+6], v[vgprLocalReadAddrB] offset:14208 // L -> Reg lro=3456 swapByteOffset=0 ti=16 vIdx=6 rIdx=0 oIdx=0 buffer=6 iui=0
_ds_load_b32 v[vgprValuB_X6_I0+7], v[vgprLocalReadAddrB] offset:14272 // L -> Reg lro=3456 swapByteOffset=0 ti=16 vIdx=7 rIdx=0 oIdx=0 buffer=6 iui=0
v_mfma_f32_16x16x4_f32 v[60+0:63+0], v[vgprG2LA+3+0], v[vgprValuB_X1_I0+7+0+0], v[60:63]
/*  mfmaIndex:25  */
/* localReadsVacancy: latencyLeft 5 */
_ds_load_b32 v[vgprValuB_X7_I0+0], v[vgprLocalReadAddrB] offset:16128 // L -> Reg lro=4032 swapByteOffset=0 ti=16 vIdx=0 rIdx=0 oIdx=0 buffer=7 iui=0
_ds_load_b32 v[vgprValuB_X7_I0+1], v[vgprLocalReadAddrB] offset:16192 // L -> Reg lro=4032 swapByteOffset=0 ti=16 vIdx=1 rIdx=0 oIdx=0 buffer=7 iui=0
v_mfma_f32_16x16x4_f32 v[52+0:55+0], v[vgprG2LA+3+0], v[vgprValuB_X1_I0+6+0+0], v[52:55]
/*  mfmaIndex:26  */
/* localReadsVacancy: latencyLeft 5 */
_ds_load_b32 v[vgprValuB_X7_I0+2], v[vgprLocalReadAddrB] offset:16256 // L -> Reg lro=4032 swapByteOffset=0 ti=16 vIdx=2 rIdx=0 oIdx=0 buffer=7 iui=0
_ds_load_b32 v[vgprValuB_X7_I0+3], v[vgprLocalReadAddrB] offset:16320 // L -> Reg lro=4032 swapByteOffset=0 ti=16 vIdx=3 rIdx=0 oIdx=0 buffer=7 iui=0
	;; [unrolled: 5-line block ×4, first 2 shown]
v_mfma_f32_16x16x4_f32 v[28+0:31+0], v[vgprG2LA+3+0], v[vgprValuB_X1_I0+3+0+0], v[28:31]
/*  mfmaIndex:29  */
/* localReadsVacancy: latencyLeft 5 */
v_mfma_f32_16x16x4_f32 v[20+0:23+0], v[vgprG2LA+3+0], v[vgprValuB_X1_I0+2+0+0], v[20:23]
/*  mfmaIndex:30  */
/* localReadsVacancy: latencyLeft 5 */
	;; [unrolled: 3-line block ×3, first 2 shown]
v_mfma_f32_16x16x4_f32 v[4+0:7+0], v[vgprG2LA+3+0], v[vgprValuB_X1_I0+0+0+0], v[4:7]
/* numPrefetchIter=0 */
/* dataAtIterA=0 numReadsIterA=2 skipReadsIterA=1 readsPerIterA=2 */
/* dataAtIterB=0 numReadsIterB=2 skipReadsIterB=1 readsPerIterB=8 */


/* iter 2 */

s_waitcnt vmcnt(30)                                // lgkmcnt=-1 vmcnt=30global read wait for DirectToVgpr

/*  grEndMfmaIndex:6, lwStartMfmaIndex:92, lwEndMfmaIndex:111  */
/*  numMfmaForLR:6, barrierMfmaIndex:121, LocalWritePerMfma:0.165 */
/*  mfmaIndex:32  */
/* localReadsVacancy: latencyLeft 5 */
s_waitcnt lgkmcnt(15)                              // lgkmcnt=0 vmcnt=-1wait for prior local read local write old=0, new=0 newLW=0 newLR=0
v_mfma_f32_16x16x4_f32 v[0+0:3+0], v[vgprG2LA+4+0], v[vgprValuB_X2_I0+0+0+0], v[0:3]
/*  mfmaIndex:33  */
/* localReadsVacancy: latencyLeft 5 */
v_mfma_f32_16x16x4_f32 v[8+0:11+0], v[vgprG2LA+4+0], v[vgprValuB_X2_I0+1+0+0], v[8:11]
/*  mfmaIndex:34  */
/* localReadsVacancy: latencyLeft 5 */
	;; [unrolled: 3-line block ×15, first 2 shown]
v_mfma_f32_16x16x4_f32 v[4+0:7+0], v[vgprG2LA+5+0], v[vgprValuB_X2_I0+0+0+0], v[4:7]
/* numPrefetchIter=0 */
/* dataAtIterA=1 numReadsIterA=3 skipReadsIterA=1 readsPerIterA=2 */
/* dataAtIterB=1 numReadsIterB=3 skipReadsIterB=1 readsPerIterB=8 */


/* iter 3 */

s_waitcnt vmcnt(28)                                // lgkmcnt=-1 vmcnt=28global read wait for DirectToVgpr

/*  grEndMfmaIndex:6, lwStartMfmaIndex:92, lwEndMfmaIndex:111  */
/*  numMfmaForLR:6, barrierMfmaIndex:121, LocalWritePerMfma:0.165 */
/*  mfmaIndex:48  */
/* localReadsVacancy: latencyLeft 5 */
s_waitcnt lgkmcnt(15)                              // lgkmcnt=0 vmcnt=-1wait for prior local read local write old=2, new=2 newLW=0 newLR=0
v_mfma_f32_16x16x4_f32 v[0+0:3+0], v[vgprG2LA+6+0], v[vgprValuB_X3_I0+0+0+0], v[0:3]
/*  mfmaIndex:49  */
/* localReadsVacancy: latencyLeft 5 */
v_mfma_f32_16x16x4_f32 v[8+0:11+0], v[vgprG2LA+6+0], v[vgprValuB_X3_I0+1+0+0], v[8:11]
/*  mfmaIndex:50  */
/* localReadsVacancy: latencyLeft 5 */
	;; [unrolled: 3-line block ×15, first 2 shown]
v_mfma_f32_16x16x4_f32 v[4+0:7+0], v[vgprG2LA+7+0], v[vgprValuB_X3_I0+0+0+0], v[4:7]
/* numPrefetchIter=0 */
/* dataAtIterA=2 numReadsIterA=4 skipReadsIterA=1 readsPerIterA=2 */
/* dataAtIterB=2 numReadsIterB=4 skipReadsIterB=1 readsPerIterB=8 */


/* iter 4 */

s_waitcnt vmcnt(26)                                // lgkmcnt=-1 vmcnt=26global read wait for DirectToVgpr

/*  grEndMfmaIndex:6, lwStartMfmaIndex:92, lwEndMfmaIndex:111  */
/*  numMfmaForLR:6, barrierMfmaIndex:121, LocalWritePerMfma:0.165 */
/*  mfmaIndex:64  */
/* localReadsVacancy: latencyLeft 5 */
s_waitcnt lgkmcnt(15)                              // lgkmcnt=0 vmcnt=-1wait for prior local read local write old=8, new=8 newLW=0 newLR=0
v_mfma_f32_16x16x4_f32 v[0+0:3+0], v[vgprG2LA+8+0], v[vgprValuB_X4_I0+0+0+0], v[0:3]
/*  mfmaIndex:65  */
/* localReadsVacancy: latencyLeft 5 */
v_mfma_f32_16x16x4_f32 v[8+0:11+0], v[vgprG2LA+8+0], v[vgprValuB_X4_I0+1+0+0], v[8:11]
/*  mfmaIndex:66  */
/* localReadsVacancy: latencyLeft 5 */
	;; [unrolled: 3-line block ×15, first 2 shown]
v_mfma_f32_16x16x4_f32 v[4+0:7+0], v[vgprG2LA+9+0], v[vgprValuB_X4_I0+0+0+0], v[4:7]
/* numPrefetchIter=0 */
/* dataAtIterA=3 numReadsIterA=5 skipReadsIterA=1 readsPerIterA=2 */
/* dataAtIterB=3 numReadsIterB=5 skipReadsIterB=1 readsPerIterB=8 */


/* iter 5 */

s_waitcnt vmcnt(24)                                // lgkmcnt=-1 vmcnt=24global read wait for DirectToVgpr

/*  grEndMfmaIndex:6, lwStartMfmaIndex:92, lwEndMfmaIndex:111  */
/*  numMfmaForLR:6, barrierMfmaIndex:121, LocalWritePerMfma:0.165 */
/*  mfmaIndex:80  */
/* localReadsVacancy: latencyLeft 5 */
s_waitcnt lgkmcnt(15)                              // lgkmcnt=0 vmcnt=-1wait for prior local read local write old=8, new=8 newLW=0 newLR=0
v_mfma_f32_16x16x4_f32 v[0+0:3+0], v[vgprG2LA+10+0], v[vgprValuB_X5_I0+0+0+0], v[0:3]
/*  mfmaIndex:81  */
/* localReadsVacancy: latencyLeft 5 */
v_mfma_f32_16x16x4_f32 v[8+0:11+0], v[vgprG2LA+10+0], v[vgprValuB_X5_I0+1+0+0], v[8:11]
/*  mfmaIndex:82  */
/* localReadsVacancy: latencyLeft 5 */
	;; [unrolled: 3-line block ×11, first 2 shown]
/* 1 LDS buffer: read-sync-write */
s_waitcnt lgkmcnt(0)                               // 
s_barrier                                          // 
v_mfma_f32_16x16x4_f32 v[36+0:39+0], v[vgprG2LA+11+0], v[vgprValuB_X5_I0+4+0+0], v[36:39]
/*  mfmaIndex:92  */
/* localReadsVacancy: latencyLeft 1 */
s_setprio 3                                        // store optimization
/* sched write - iter 5 writesPerItem=1 */
s_waitcnt vmcnt(0)                                 // lgkmcnt=-1 vmcnt=0wait for global read before writing to local
_ds_store_b128 v[vgprLocalWriteAddrB], v[vgprG2LB+0:vgprG2LB+0+3] offset:0 // lwoB_0_0_0_0 = (0*LSCB) + (0*LSPB)(*MT1J+PAD) = 0
v_mfma_f32_16x16x4_f32 v[28+0:31+0], v[vgprG2LA+11+0], v[vgprValuB_X5_I0+3+0+0], v[28:31]
/*  mfmaIndex:93  */
_buffer_load_b128 v[vgprG2LB+0:vgprG2LB+0+3], v[vgprGlobalReadOffsetB+0], s[sgprSrdB:sgprSrdB+3], 0, offen offset:0 // G -> Reg 0_0_0_0
v_mfma_f32_16x16x4_f32 v[20+0:23+0], v[vgprG2LA+11+0], v[vgprValuB_X5_I0+2+0+0], v[20:23]
/*  mfmaIndex:94  */
v_mfma_f32_16x16x4_f32 v[12+0:15+0], v[vgprG2LA+11+0], v[vgprValuB_X5_I0+1+0+0], v[12:15]
/*  mfmaIndex:95  */
v_mfma_f32_16x16x4_f32 v[4+0:7+0], v[vgprG2LA+11+0], v[vgprValuB_X5_I0+0+0+0], v[4:7]
/* numPrefetchIter=0 */
/* dataAtIterA=4 numReadsIterA=6 skipReadsIterA=1 readsPerIterA=2 */
/* dataAtIterB=4 numReadsIterB=6 skipReadsIterB=1 readsPerIterB=8 */


/* iter 6 (reset local read pointers iteration)  (swap and reset local write pointers iteration)  (swap local read pointers iteration)  */

/*  grEndMfmaIndex:6, lwStartMfmaIndex:92, lwEndMfmaIndex:111  */
/*  numMfmaForLR:6, barrierMfmaIndex:121, LocalWritePerMfma:0.165 */
/*  mfmaIndex:96  */
v_mfma_f32_16x16x4_f32 v[0+0:3+0], v[vgprG2LA+12+0], v[vgprValuB_X6_I0+0+0+0], v[0:3]
/*  mfmaIndex:97  */
v_mfma_f32_16x16x4_f32 v[8+0:11+0], v[vgprG2LA+12+0], v[vgprValuB_X6_I0+1+0+0], v[8:11]
/*  mfmaIndex:98  */
/* sched write - iter 6 writesPerItem=1 */
s_waitcnt vmcnt(0)                                 // lgkmcnt=-1 vmcnt=0wait for global read before writing to local
_ds_store_b128 v[vgprLocalWriteAddrB], v[vgprG2LB+4:vgprG2LB+4+3] offset:1152 // lwoB_0_0_1_0 = (0*LSCB) + (1*LSPB)(*MT1J+PAD) = 1152
v_mfma_f32_16x16x4_f32 v[16+0:19+0], v[vgprG2LA+12+0], v[vgprValuB_X6_I0+2+0+0], v[16:19]
/*  mfmaIndex:99  */
_buffer_load_b128 v[vgprG2LB+4:vgprG2LB+4+3], v[vgprGlobalReadOffsetB+1], s[sgprSrdB:sgprSrdB+3], 0, offen offset:0 // G -> Reg 0_0_1_0
v_mfma_f32_16x16x4_f32 v[24+0:27+0], v[vgprG2LA+12+0], v[vgprValuB_X6_I0+3+0+0], v[24:27]
/*  mfmaIndex:100  */
v_mfma_f32_16x16x4_f32 v[32+0:35+0], v[vgprG2LA+12+0], v[vgprValuB_X6_I0+4+0+0], v[32:35]
/*  mfmaIndex:101  */
	;; [unrolled: 2-line block ×5, first 2 shown]
/* sched write - iter 6 writesPerItem=1 */
s_waitcnt vmcnt(0)                                 // lgkmcnt=-1 vmcnt=0wait for global read before writing to local
_ds_store_b128 v[vgprLocalWriteAddrB], v[vgprG2LB+8:vgprG2LB+8+3] offset:2304 // lwoB_0_0_2_0 = (0*LSCB) + (2*LSPB)(*MT1J+PAD) = 2304
v_mfma_f32_16x16x4_f32 v[60+0:63+0], v[vgprG2LA+13+0], v[vgprValuB_X6_I0+7+0+0], v[60:63]
/*  mfmaIndex:105  */
_buffer_load_b128 v[vgprG2LB+8:vgprG2LB+8+3], v[vgprGlobalReadOffsetB+2], s[sgprSrdB:sgprSrdB+3], 0, offen offset:0 // G -> Reg 0_0_2_0
v_mfma_f32_16x16x4_f32 v[52+0:55+0], v[vgprG2LA+13+0], v[vgprValuB_X6_I0+6+0+0], v[52:55]
/*  mfmaIndex:106  */
v_mfma_f32_16x16x4_f32 v[44+0:47+0], v[vgprG2LA+13+0], v[vgprValuB_X6_I0+5+0+0], v[44:47]
/*  mfmaIndex:107  */
	;; [unrolled: 2-line block ×5, first 2 shown]
/* sched write - iter 6 writesPerItem=1 */
s_waitcnt vmcnt(0)                                 // lgkmcnt=-1 vmcnt=0wait for global read before writing to local
_ds_store_b128 v[vgprLocalWriteAddrB], v[vgprG2LB+12:vgprG2LB+12+3] offset:3456 // lwoB_0_0_3_0 = (0*LSCB) + (3*LSPB)(*MT1J+PAD) = 3456
v_mfma_f32_16x16x4_f32 v[12+0:15+0], v[vgprG2LA+13+0], v[vgprValuB_X6_I0+1+0+0], v[12:15]
/*  mfmaIndex:111  */
_buffer_load_b128 v[vgprG2LB+12:vgprG2LB+12+3], v[vgprGlobalReadOffsetB+3], s[sgprSrdB:sgprSrdB+3], 0, offen offset:0 // G -> Reg 0_0_3_0

/* local write swap offsets a */

/* local write swap offsets b */

/* local read swap offsets a */

/* local read swap offsets b */

/* local read init pointers a */

/* local read init pointers b */

/* localReadInitPointers */
v_mfma_f32_16x16x4_f32 v[4+0:7+0], v[vgprG2LA+13+0], v[vgprValuB_X6_I0+0+0+0], v[4:7]


/* iter 7 */

/*  grEndMfmaIndex:6, lwStartMfmaIndex:92, lwEndMfmaIndex:111  */
/*  numMfmaForLR:6, barrierMfmaIndex:121, LocalWritePerMfma:0.165 */
/*  mfmaIndex:112  */
v_mfma_f32_16x16x4_f32 v[0+0:3+0], v[vgprG2LA+14+0], v[vgprValuB_X7_I0+0+0+0], v[0:3]
_buffer_load_b32 v[vgprG2LA0+0], v[vgprGlobalReadOffsetA+0], s[sgprSrdA:sgprSrdA+3], 0, offen offset:0 // G -> Reg 0_0_0_0
/*  mfmaIndex:113  */
v_mfma_f32_16x16x4_f32 v[8+0:11+0], v[vgprG2LA+14+0], v[vgprValuB_X7_I0+1+0+0], v[8:11]
_buffer_load_b32 v[vgprG2LA0+1], v[vgprGlobalReadOffsetA+1], s[sgprSrdA:sgprSrdA+3], 0, offen offset:0 // G -> Reg 1_0_0_0
/*  mfmaIndex:114  */
v_mfma_f32_16x16x4_f32 v[16+0:19+0], v[vgprG2LA+14+0], v[vgprValuB_X7_I0+2+0+0], v[16:19]
_buffer_load_b32 v[vgprG2LA0+2], v[vgprGlobalReadOffsetA+2], s[sgprSrdA:sgprSrdA+3], 0, offen offset:0 // G -> Reg 0_0_1_0
/*  mfmaIndex:115  */
v_mfma_f32_16x16x4_f32 v[24+0:27+0], v[vgprG2LA+14+0], v[vgprValuB_X7_I0+3+0+0], v[24:27]
_buffer_load_b32 v[vgprG2LA0+3], v[vgprGlobalReadOffsetA+3], s[sgprSrdA:sgprSrdA+3], 0, offen offset:0 // G -> Reg 1_0_1_0
/*  mfmaIndex:116  */
v_mfma_f32_16x16x4_f32 v[32+0:35+0], v[vgprG2LA+14+0], v[vgprValuB_X7_I0+4+0+0], v[32:35]
_buffer_load_b32 v[vgprG2LA0+4], v[vgprGlobalReadOffsetA+4], s[sgprSrdA:sgprSrdA+3], 0, offen offset:0 // G -> Reg 0_0_2_0
/*  mfmaIndex:117  */
v_mfma_f32_16x16x4_f32 v[40+0:43+0], v[vgprG2LA+14+0], v[vgprValuB_X7_I0+5+0+0], v[40:43]
_buffer_load_b32 v[vgprG2LA0+5], v[vgprGlobalReadOffsetA+5], s[sgprSrdA:sgprSrdA+3], 0, offen offset:0 // G -> Reg 1_0_2_0
/*  mfmaIndex:118  */
v_mfma_f32_16x16x4_f32 v[48+0:51+0], v[vgprG2LA+14+0], v[vgprValuB_X7_I0+6+0+0], v[48:51]
_buffer_load_b32 v[vgprG2LA0+6], v[vgprGlobalReadOffsetA+6], s[sgprSrdA:sgprSrdA+3], 0, offen offset:0 // G -> Reg 0_0_3_0
/*  mfmaIndex:119  */
v_mfma_f32_16x16x4_f32 v[56+0:59+0], v[vgprG2LA+14+0], v[vgprValuB_X7_I0+7+0+0], v[56:59]
_buffer_load_b32 v[vgprG2LA0+7], v[vgprGlobalReadOffsetA+7], s[sgprSrdA:sgprSrdA+3], 0, offen offset:0 // G -> Reg 1_0_3_0
/*  mfmaIndex:120  */
v_mfma_f32_16x16x4_f32 v[4+0:7+0], v[vgprG2LA+15+0], v[vgprValuB_X7_I0+0+0+0], v[4:7]
_buffer_load_b32 v[vgprG2LA0+8], v[vgprGlobalReadOffsetA+8], s[sgprSrdA:sgprSrdA+3], 0, offen offset:0 // G -> Reg 0_0_4_0
s_setprio 0                                        // store optimization
/*  mfmaIndex:121  */
s_waitcnt lgkmcnt(0)                               // lgkmcnt=0 vmcnt=-13wait for local write
s_barrier
v_mfma_f32_16x16x4_f32 v[12+0:15+0], v[vgprG2LA+15+0], v[vgprValuB_X7_I0+1+0+0], v[12:15]
_buffer_load_b32 v[vgprG2LA0+9], v[vgprGlobalReadOffsetA+9], s[sgprSrdA:sgprSrdA+3], 0, offen offset:0 // G -> Reg 1_0_4_0
/*  mfmaIndex:122  */
s_setprio 3                                        // store optimization
_ds_load_b32 v[vgprValuB_X0_I0+0], v[vgprLocalReadAddrB] offset:0 // L -> Reg lro=0 swapByteOffset=0 ti=16 vIdx=0 rIdx=0 oIdx=0 buffer=0 iui=0
_ds_load_b32 v[vgprValuB_X0_I0+1], v[vgprLocalReadAddrB] offset:64 // L -> Reg lro=0 swapByteOffset=0 ti=16 vIdx=1 rIdx=0 oIdx=0 buffer=0 iui=0
v_mfma_f32_16x16x4_f32 v[20+0:23+0], v[vgprG2LA+15+0], v[vgprValuB_X7_I0+2+0+0], v[20:23]
_buffer_load_b32 v[vgprG2LA0+10], v[vgprGlobalReadOffsetA+10], s[sgprSrdA:sgprSrdA+3], 0, offen offset:0 // G -> Reg 0_0_5_0
/*  mfmaIndex:123  */
_ds_load_b32 v[vgprValuB_X0_I0+2], v[vgprLocalReadAddrB] offset:128 // L -> Reg lro=0 swapByteOffset=0 ti=16 vIdx=2 rIdx=0 oIdx=0 buffer=0 iui=0
_ds_load_b32 v[vgprValuB_X0_I0+3], v[vgprLocalReadAddrB] offset:192 // L -> Reg lro=0 swapByteOffset=0 ti=16 vIdx=3 rIdx=0 oIdx=0 buffer=0 iui=0
v_mfma_f32_16x16x4_f32 v[28+0:31+0], v[vgprG2LA+15+0], v[vgprValuB_X7_I0+3+0+0], v[28:31]
_buffer_load_b32 v[vgprG2LA0+11], v[vgprGlobalReadOffsetA+11], s[sgprSrdA:sgprSrdA+3], 0, offen offset:0 // G -> Reg 1_0_5_0
/*  mfmaIndex:124  */
_ds_load_b32 v[vgprValuB_X0_I0+4], v[vgprLocalReadAddrB] offset:256 // L -> Reg lro=0 swapByteOffset=0 ti=16 vIdx=4 rIdx=0 oIdx=0 buffer=0 iui=0
_ds_load_b32 v[vgprValuB_X0_I0+5], v[vgprLocalReadAddrB] offset:320 // L -> Reg lro=0 swapByteOffset=0 ti=16 vIdx=5 rIdx=0 oIdx=0 buffer=0 iui=0
v_mfma_f32_16x16x4_f32 v[36+0:39+0], v[vgprG2LA+15+0], v[vgprValuB_X7_I0+4+0+0], v[36:39]
_buffer_load_b32 v[vgprG2LA0+12], v[vgprGlobalReadOffsetA+12], s[sgprSrdA:sgprSrdA+3], 0, offen offset:0 // G -> Reg 0_0_6_0
/*  mfmaIndex:125  */
_ds_load_b32 v[vgprValuB_X0_I0+6], v[vgprLocalReadAddrB] offset:384 // L -> Reg lro=0 swapByteOffset=0 ti=16 vIdx=6 rIdx=0 oIdx=0 buffer=0 iui=0
_ds_load_b32 v[vgprValuB_X0_I0+7], v[vgprLocalReadAddrB] offset:448 // L -> Reg lro=0 swapByteOffset=0 ti=16 vIdx=7 rIdx=0 oIdx=0 buffer=0 iui=0
v_mfma_f32_16x16x4_f32 v[44+0:47+0], v[vgprG2LA+15+0], v[vgprValuB_X7_I0+5+0+0], v[44:47]
_buffer_load_b32 v[vgprG2LA0+13], v[vgprGlobalReadOffsetA+13], s[sgprSrdA:sgprSrdA+3], 0, offen offset:0 // G -> Reg 1_0_6_0
/*  mfmaIndex:126  */
v_mfma_f32_16x16x4_f32 v[52+0:55+0], v[vgprG2LA+15+0], v[vgprValuB_X7_I0+6+0+0], v[52:55]
_buffer_load_b32 v[vgprG2LA0+14], v[vgprGlobalReadOffsetA+14], s[sgprSrdA:sgprSrdA+3], 0, offen offset:0 // G -> Reg 0_0_7_0
/*  mfmaIndex:127  */
v_mfma_f32_16x16x4_f32 v[60+0:63+0], v[vgprG2LA+15+0], v[vgprValuB_X7_I0+7+0+0], v[60:63]
_buffer_load_b32 v[vgprG2LA0+15], v[vgprGlobalReadOffsetA+15], s[sgprSrdA:sgprSrdA+3], 0, offen offset:0 // G -> Reg 1_0_7_0
s_setprio 0                                        // store optimization


/******************************************/
/* Unrolled Loop - End 1/2                */
/******************************************/


/* closeLoop loopL finalLoop=0 tailLoop=0 */
s_sub_u32 s[sgprLoopCounterL], s[sgprLoopCounterL], 1 // dec counterL
s_cmp_eq_i32 s[sgprLoopCounterL], 0x2              // counterL==2
s_cbranch_scc1 LoopEndL_oddexit_3                  // exit LoopL


/******************************************/
/* Unrolled Loop 2/2 - Begin              */
/******************************************/

label_0016: // LoopCopy2 


/* Begin Each Unroll: Check VGPR.checkin for INT8 LW */


	;; [unrolled: 1-line block ×3, first 2 shown]
/* iter 0 */

s_waitcnt vmcnt(34)                                // lgkmcnt=-1 vmcnt=34global read wait for DirectToVgpr

/*  grEndMfmaIndex:6, lwStartMfmaIndex:92, lwEndMfmaIndex:111  */
/*  numMfmaForLR:6, barrierMfmaIndex:121, LocalWritePerMfma:0.165 */
/*  mfmaIndex:0  */
s_waitcnt lgkmcnt(0)                               // lgkmcnt=0 vmcnt=-1wait for prior local read local write old=0, new=0 newLW=0 newLR=0
v_mfma_f32_16x16x4_f32 v[0+0:3+0], v[vgprG2LA+16+0], v[vgprValuB_X0_I0+0+0+0], v[0:3]
/*  mfmaIndex:1  */
_ds_load_b32 v[vgprValuB_X1_I0+0], v[vgprLocalReadAddrB] offset:2304 // L -> Reg lro=576 swapByteOffset=0 ti=16 vIdx=0 rIdx=0 oIdx=0 buffer=1 iui=0
_ds_load_b32 v[vgprValuB_X1_I0+1], v[vgprLocalReadAddrB] offset:2368 // L -> Reg lro=576 swapByteOffset=0 ti=16 vIdx=1 rIdx=0 oIdx=0 buffer=1 iui=0

/* global read inc B loopL */
s_cmp_eq_u32 s[sgprLoopCounterL], s[sgprStaggerUIter] // Is this the wrapIter?
s_cselect_b32 s54, s[sgprWrapUB+0], s[sgprGlobalReadIncsB+0] // incLower <- ?
s_cselect_b32 s55, s[sgprWrapUB+1], 0              // incUpper <- ?
v_mfma_f32_16x16x4_f32 v[8+0:11+0], v[vgprG2LA+16+0], v[vgprValuB_X0_I0+1+0+0], v[8:11]
/*  mfmaIndex:2  */
_ds_load_b32 v[vgprValuB_X1_I0+2], v[vgprLocalReadAddrB] offset:2432 // L -> Reg lro=576 swapByteOffset=0 ti=16 vIdx=2 rIdx=0 oIdx=0 buffer=1 iui=0
_ds_load_b32 v[vgprValuB_X1_I0+3], v[vgprLocalReadAddrB] offset:2496 // L -> Reg lro=576 swapByteOffset=0 ti=16 vIdx=3 rIdx=0 oIdx=0 buffer=1 iui=0
s_add_u32 s[sgprSrdB+0], s[sgprSrdB+0], s54        // gra SRD += inc(lower)
s_addc_u32  s[sgprSrdB+1], s[sgprSrdB+1], s55      // gra SRD += inc(upper)
s_sub_u32 s[sgprShadowLimitB+0], s[sgprShadowLimitB+0], s54 // limit -= inc)
v_mfma_f32_16x16x4_f32 v[16+0:19+0], v[vgprG2LA+16+0], v[vgprValuB_X0_I0+2+0+0], v[16:19]
/*  mfmaIndex:3  */
_ds_load_b32 v[vgprValuB_X1_I0+4], v[vgprLocalReadAddrB] offset:2560 // L -> Reg lro=576 swapByteOffset=0 ti=16 vIdx=4 rIdx=0 oIdx=0 buffer=1 iui=0
_ds_load_b32 v[vgprValuB_X1_I0+5], v[vgprLocalReadAddrB] offset:2624 // L -> Reg lro=576 swapByteOffset=0 ti=16 vIdx=5 rIdx=0 oIdx=0 buffer=1 iui=0
s_subb_u32 s[sgprShadowLimitB+1], s[sgprShadowLimitB+1], s55 // limit -= inc)
s_cmp_eq_u32 s[sgprShadowLimitB+1], 0              // are we within 2^32?
s_cselect_b32 s[sgprSrdB+2], s[sgprShadowLimitB+0], BufferLimitB // Move shadow to real if we are within 2^32
v_mfma_f32_16x16x4_f32 v[24+0:27+0], v[vgprG2LA+16+0], v[vgprValuB_X0_I0+3+0+0], v[24:27]
/*  mfmaIndex:4  */
_ds_load_b32 v[vgprValuB_X1_I0+6], v[vgprLocalReadAddrB] offset:2688 // L -> Reg lro=576 swapByteOffset=0 ti=16 vIdx=6 rIdx=0 oIdx=0 buffer=1 iui=0
_ds_load_b32 v[vgprValuB_X1_I0+7], v[vgprLocalReadAddrB] offset:2752 // L -> Reg lro=576 swapByteOffset=0 ti=16 vIdx=7 rIdx=0 oIdx=0 buffer=1 iui=0
/* localReadsVacancy: latencyLeft 1 */

/* global read inc A loopL */
s_cmp_eq_u32 s[sgprLoopCounterL], s[sgprStaggerUIter] // Is this the wrapIter?
s_cselect_b32 s54, s[sgprWrapUA+0], s[sgprGlobalReadIncsA+0] // incLower <- ?
s_cselect_b32 s55, s[sgprWrapUA+1], 0              // incUpper <- ?
v_mfma_f32_16x16x4_f32 v[32+0:35+0], v[vgprG2LA+16+0], v[vgprValuB_X0_I0+4+0+0], v[32:35]
/*  mfmaIndex:5  */
/* localReadsVacancy: latencyLeft 5 */
_ds_load_b32 v[vgprValuB_X2_I0+0], v[vgprLocalReadAddrB] offset:4608 // L -> Reg lro=1152 swapByteOffset=0 ti=16 vIdx=0 rIdx=0 oIdx=0 buffer=2 iui=0
_ds_load_b32 v[vgprValuB_X2_I0+1], v[vgprLocalReadAddrB] offset:4672 // L -> Reg lro=1152 swapByteOffset=0 ti=16 vIdx=1 rIdx=0 oIdx=0 buffer=2 iui=0
s_add_u32 s[sgprSrdA+0], s[sgprSrdA+0], s54        // gra SRD += inc(lower)
s_addc_u32  s[sgprSrdA+1], s[sgprSrdA+1], s55      // gra SRD += inc(upper)
s_sub_u32 s[sgprShadowLimitA+0], s[sgprShadowLimitA+0], s54 // limit -= inc)
v_mfma_f32_16x16x4_f32 v[40+0:43+0], v[vgprG2LA+16+0], v[vgprValuB_X0_I0+5+0+0], v[40:43]
/*  mfmaIndex:6  */
/* localReadsVacancy: latencyLeft 5 */
_ds_load_b32 v[vgprValuB_X2_I0+2], v[vgprLocalReadAddrB] offset:4736 // L -> Reg lro=1152 swapByteOffset=0 ti=16 vIdx=2 rIdx=0 oIdx=0 buffer=2 iui=0
_ds_load_b32 v[vgprValuB_X2_I0+3], v[vgprLocalReadAddrB] offset:4800 // L -> Reg lro=1152 swapByteOffset=0 ti=16 vIdx=3 rIdx=0 oIdx=0 buffer=2 iui=0
s_subb_u32 s[sgprShadowLimitA+1], s[sgprShadowLimitA+1], s55 // limit -= inc)
s_cmp_eq_u32 s[sgprShadowLimitA+1], 0              // are we within 2^32?
s_cselect_b32 s[sgprSrdA+2], s[sgprShadowLimitA+0], BufferLimitA // Move shadow to real if we are within 2^32
v_mfma_f32_16x16x4_f32 v[48+0:51+0], v[vgprG2LA+16+0], v[vgprValuB_X0_I0+6+0+0], v[48:51]
/*  mfmaIndex:7  */
/* localReadsVacancy: latencyLeft 5 */
_ds_load_b32 v[vgprValuB_X2_I0+4], v[vgprLocalReadAddrB] offset:4864 // L -> Reg lro=1152 swapByteOffset=0 ti=16 vIdx=4 rIdx=0 oIdx=0 buffer=2 iui=0
_ds_load_b32 v[vgprValuB_X2_I0+5], v[vgprLocalReadAddrB] offset:4928 // L -> Reg lro=1152 swapByteOffset=0 ti=16 vIdx=5 rIdx=0 oIdx=0 buffer=2 iui=0
v_mfma_f32_16x16x4_f32 v[56+0:59+0], v[vgprG2LA+16+0], v[vgprValuB_X0_I0+7+0+0], v[56:59]
/*  mfmaIndex:8  */
/* localReadsVacancy: latencyLeft 5 */
_ds_load_b32 v[vgprValuB_X2_I0+6], v[vgprLocalReadAddrB] offset:4992 // L -> Reg lro=1152 swapByteOffset=0 ti=16 vIdx=6 rIdx=0 oIdx=0 buffer=2 iui=0
_ds_load_b32 v[vgprValuB_X2_I0+7], v[vgprLocalReadAddrB] offset:5056 // L -> Reg lro=1152 swapByteOffset=0 ti=16 vIdx=7 rIdx=0 oIdx=0 buffer=2 iui=0
v_mfma_f32_16x16x4_f32 v[60+0:63+0], v[vgprG2LA+17+0], v[vgprValuB_X0_I0+7+0+0], v[60:63]
/*  mfmaIndex:9  */
/* localReadsVacancy: latencyLeft 5 */
_ds_load_b32 v[vgprValuB_X3_I0+0], v[vgprLocalReadAddrB] offset:6912 // L -> Reg lro=1728 swapByteOffset=0 ti=16 vIdx=0 rIdx=0 oIdx=0 buffer=3 iui=0
_ds_load_b32 v[vgprValuB_X3_I0+1], v[vgprLocalReadAddrB] offset:6976 // L -> Reg lro=1728 swapByteOffset=0 ti=16 vIdx=1 rIdx=0 oIdx=0 buffer=3 iui=0
v_mfma_f32_16x16x4_f32 v[52+0:55+0], v[vgprG2LA+17+0], v[vgprValuB_X0_I0+6+0+0], v[52:55]
/*  mfmaIndex:10  */
/* localReadsVacancy: latencyLeft 5 */
_ds_load_b32 v[vgprValuB_X3_I0+2], v[vgprLocalReadAddrB] offset:7040 // L -> Reg lro=1728 swapByteOffset=0 ti=16 vIdx=2 rIdx=0 oIdx=0 buffer=3 iui=0
_ds_load_b32 v[vgprValuB_X3_I0+3], v[vgprLocalReadAddrB] offset:7104 // L -> Reg lro=1728 swapByteOffset=0 ti=16 vIdx=3 rIdx=0 oIdx=0 buffer=3 iui=0
	;; [unrolled: 5-line block ×4, first 2 shown]
v_mfma_f32_16x16x4_f32 v[28+0:31+0], v[vgprG2LA+17+0], v[vgprValuB_X0_I0+3+0+0], v[28:31]
/*  mfmaIndex:13  */
/* localReadsVacancy: latencyLeft 5 */
_ds_load_b32 v[vgprValuB_X4_I0+0], v[vgprLocalReadAddrB] offset:9216 // L -> Reg lro=2304 swapByteOffset=0 ti=16 vIdx=0 rIdx=0 oIdx=0 buffer=4 iui=0
_ds_load_b32 v[vgprValuB_X4_I0+1], v[vgprLocalReadAddrB] offset:9280 // L -> Reg lro=2304 swapByteOffset=0 ti=16 vIdx=1 rIdx=0 oIdx=0 buffer=4 iui=0
v_mfma_f32_16x16x4_f32 v[20+0:23+0], v[vgprG2LA+17+0], v[vgprValuB_X0_I0+2+0+0], v[20:23]
/*  mfmaIndex:14  */
/* localReadsVacancy: latencyLeft 5 */
_ds_load_b32 v[vgprValuB_X4_I0+2], v[vgprLocalReadAddrB] offset:9344 // L -> Reg lro=2304 swapByteOffset=0 ti=16 vIdx=2 rIdx=0 oIdx=0 buffer=4 iui=0
_ds_load_b32 v[vgprValuB_X4_I0+3], v[vgprLocalReadAddrB] offset:9408 // L -> Reg lro=2304 swapByteOffset=0 ti=16 vIdx=3 rIdx=0 oIdx=0 buffer=4 iui=0
v_mfma_f32_16x16x4_f32 v[12+0:15+0], v[vgprG2LA+17+0], v[vgprValuB_X0_I0+1+0+0], v[12:15]
/*  mfmaIndex:15  */
/* localReadsVacancy: latencyLeft 5 */
_ds_load_b32 v[vgprValuB_X4_I0+4], v[vgprLocalReadAddrB] offset:9472 // L -> Reg lro=2304 swapByteOffset=0 ti=16 vIdx=4 rIdx=0 oIdx=0 buffer=4 iui=0
_ds_load_b32 v[vgprValuB_X4_I0+5], v[vgprLocalReadAddrB] offset:9536 // L -> Reg lro=2304 swapByteOffset=0 ti=16 vIdx=5 rIdx=0 oIdx=0 buffer=4 iui=0
v_mfma_f32_16x16x4_f32 v[4+0:7+0], v[vgprG2LA+17+0], v[vgprValuB_X0_I0+0+0+0], v[4:7]
/* numPrefetchIter=0 */
/* dataAtIterA=-1 numReadsIterA=1 skipReadsIterA=1 readsPerIterA=2 */
/* dataAtIterB=-1 numReadsIterB=1 skipReadsIterB=1 readsPerIterB=8 */


/* iter 1 */

s_waitcnt vmcnt(32)                                // lgkmcnt=-1 vmcnt=32global read wait for DirectToVgpr

/*  grEndMfmaIndex:6, lwStartMfmaIndex:92, lwEndMfmaIndex:111  */
/*  numMfmaForLR:6, barrierMfmaIndex:121, LocalWritePerMfma:0.165 */
/*  mfmaIndex:16  */
/* localReadsVacancy: latencyLeft 5 */
_ds_load_b32 v[vgprValuB_X4_I0+6], v[vgprLocalReadAddrB] offset:9600 // L -> Reg lro=2304 swapByteOffset=0 ti=16 vIdx=6 rIdx=0 oIdx=0 buffer=4 iui=0
_ds_load_b32 v[vgprValuB_X4_I0+7], v[vgprLocalReadAddrB] offset:9664 // L -> Reg lro=2304 swapByteOffset=0 ti=16 vIdx=7 rIdx=0 oIdx=0 buffer=4 iui=0
s_waitcnt lgkmcnt(15)                              // lgkmcnt=0 vmcnt=-1wait for prior local read local write old=8, new=8 newLW=0 newLR=0
v_mfma_f32_16x16x4_f32 v[0+0:3+0], v[vgprG2LA+18+0], v[vgprValuB_X1_I0+0+0+0], v[0:3]
/*  mfmaIndex:17  */
/* localReadsVacancy: latencyLeft 5 */
_ds_load_b32 v[vgprValuB_X5_I0+0], v[vgprLocalReadAddrB] offset:11520 // L -> Reg lro=2880 swapByteOffset=0 ti=16 vIdx=0 rIdx=0 oIdx=0 buffer=5 iui=0
_ds_load_b32 v[vgprValuB_X5_I0+1], v[vgprLocalReadAddrB] offset:11584 // L -> Reg lro=2880 swapByteOffset=0 ti=16 vIdx=1 rIdx=0 oIdx=0 buffer=5 iui=0
v_mfma_f32_16x16x4_f32 v[8+0:11+0], v[vgprG2LA+18+0], v[vgprValuB_X1_I0+1+0+0], v[8:11]
/*  mfmaIndex:18  */
/* localReadsVacancy: latencyLeft 5 */
_ds_load_b32 v[vgprValuB_X5_I0+2], v[vgprLocalReadAddrB] offset:11648 // L -> Reg lro=2880 swapByteOffset=0 ti=16 vIdx=2 rIdx=0 oIdx=0 buffer=5 iui=0
_ds_load_b32 v[vgprValuB_X5_I0+3], v[vgprLocalReadAddrB] offset:11712 // L -> Reg lro=2880 swapByteOffset=0 ti=16 vIdx=3 rIdx=0 oIdx=0 buffer=5 iui=0
	;; [unrolled: 5-line block ×4, first 2 shown]
v_mfma_f32_16x16x4_f32 v[32+0:35+0], v[vgprG2LA+18+0], v[vgprValuB_X1_I0+4+0+0], v[32:35]
/*  mfmaIndex:21  */
/* localReadsVacancy: latencyLeft 5 */
_ds_load_b32 v[vgprValuB_X6_I0+0], v[vgprLocalReadAddrB] offset:13824 // L -> Reg lro=3456 swapByteOffset=0 ti=16 vIdx=0 rIdx=0 oIdx=0 buffer=6 iui=0
_ds_load_b32 v[vgprValuB_X6_I0+1], v[vgprLocalReadAddrB] offset:13888 // L -> Reg lro=3456 swapByteOffset=0 ti=16 vIdx=1 rIdx=0 oIdx=0 buffer=6 iui=0
v_mfma_f32_16x16x4_f32 v[40+0:43+0], v[vgprG2LA+18+0], v[vgprValuB_X1_I0+5+0+0], v[40:43]
/*  mfmaIndex:22  */
/* localReadsVacancy: latencyLeft 5 */
_ds_load_b32 v[vgprValuB_X6_I0+2], v[vgprLocalReadAddrB] offset:13952 // L -> Reg lro=3456 swapByteOffset=0 ti=16 vIdx=2 rIdx=0 oIdx=0 buffer=6 iui=0
_ds_load_b32 v[vgprValuB_X6_I0+3], v[vgprLocalReadAddrB] offset:14016 // L -> Reg lro=3456 swapByteOffset=0 ti=16 vIdx=3 rIdx=0 oIdx=0 buffer=6 iui=0
	;; [unrolled: 5-line block ×4, first 2 shown]
v_mfma_f32_16x16x4_f32 v[60+0:63+0], v[vgprG2LA+19+0], v[vgprValuB_X1_I0+7+0+0], v[60:63]
/*  mfmaIndex:25  */
/* localReadsVacancy: latencyLeft 5 */
_ds_load_b32 v[vgprValuB_X7_I0+0], v[vgprLocalReadAddrB] offset:16128 // L -> Reg lro=4032 swapByteOffset=0 ti=16 vIdx=0 rIdx=0 oIdx=0 buffer=7 iui=0
_ds_load_b32 v[vgprValuB_X7_I0+1], v[vgprLocalReadAddrB] offset:16192 // L -> Reg lro=4032 swapByteOffset=0 ti=16 vIdx=1 rIdx=0 oIdx=0 buffer=7 iui=0
v_mfma_f32_16x16x4_f32 v[52+0:55+0], v[vgprG2LA+19+0], v[vgprValuB_X1_I0+6+0+0], v[52:55]
/*  mfmaIndex:26  */
/* localReadsVacancy: latencyLeft 5 */
_ds_load_b32 v[vgprValuB_X7_I0+2], v[vgprLocalReadAddrB] offset:16256 // L -> Reg lro=4032 swapByteOffset=0 ti=16 vIdx=2 rIdx=0 oIdx=0 buffer=7 iui=0
_ds_load_b32 v[vgprValuB_X7_I0+3], v[vgprLocalReadAddrB] offset:16320 // L -> Reg lro=4032 swapByteOffset=0 ti=16 vIdx=3 rIdx=0 oIdx=0 buffer=7 iui=0
	;; [unrolled: 5-line block ×4, first 2 shown]
v_mfma_f32_16x16x4_f32 v[28+0:31+0], v[vgprG2LA+19+0], v[vgprValuB_X1_I0+3+0+0], v[28:31]
/*  mfmaIndex:29  */
/* localReadsVacancy: latencyLeft 5 */
v_mfma_f32_16x16x4_f32 v[20+0:23+0], v[vgprG2LA+19+0], v[vgprValuB_X1_I0+2+0+0], v[20:23]
/*  mfmaIndex:30  */
/* localReadsVacancy: latencyLeft 5 */
	;; [unrolled: 3-line block ×3, first 2 shown]
v_mfma_f32_16x16x4_f32 v[4+0:7+0], v[vgprG2LA+19+0], v[vgprValuB_X1_I0+0+0+0], v[4:7]
/* numPrefetchIter=0 */
/* dataAtIterA=0 numReadsIterA=2 skipReadsIterA=1 readsPerIterA=2 */
/* dataAtIterB=0 numReadsIterB=2 skipReadsIterB=1 readsPerIterB=8 */


/* iter 2 */

s_waitcnt vmcnt(30)                                // lgkmcnt=-1 vmcnt=30global read wait for DirectToVgpr

/*  grEndMfmaIndex:6, lwStartMfmaIndex:92, lwEndMfmaIndex:111  */
/*  numMfmaForLR:6, barrierMfmaIndex:121, LocalWritePerMfma:0.165 */
/*  mfmaIndex:32  */
/* localReadsVacancy: latencyLeft 5 */
s_waitcnt lgkmcnt(15)                              // lgkmcnt=0 vmcnt=-1wait for prior local read local write old=0, new=0 newLW=0 newLR=0
v_mfma_f32_16x16x4_f32 v[0+0:3+0], v[vgprG2LA+20+0], v[vgprValuB_X2_I0+0+0+0], v[0:3]
/*  mfmaIndex:33  */
/* localReadsVacancy: latencyLeft 5 */
v_mfma_f32_16x16x4_f32 v[8+0:11+0], v[vgprG2LA+20+0], v[vgprValuB_X2_I0+1+0+0], v[8:11]
/*  mfmaIndex:34  */
/* localReadsVacancy: latencyLeft 5 */
	;; [unrolled: 3-line block ×15, first 2 shown]
v_mfma_f32_16x16x4_f32 v[4+0:7+0], v[vgprG2LA+21+0], v[vgprValuB_X2_I0+0+0+0], v[4:7]
/* numPrefetchIter=0 */
/* dataAtIterA=1 numReadsIterA=3 skipReadsIterA=1 readsPerIterA=2 */
/* dataAtIterB=1 numReadsIterB=3 skipReadsIterB=1 readsPerIterB=8 */


/* iter 3 */

s_waitcnt vmcnt(28)                                // lgkmcnt=-1 vmcnt=28global read wait for DirectToVgpr

/*  grEndMfmaIndex:6, lwStartMfmaIndex:92, lwEndMfmaIndex:111  */
/*  numMfmaForLR:6, barrierMfmaIndex:121, LocalWritePerMfma:0.165 */
/*  mfmaIndex:48  */
/* localReadsVacancy: latencyLeft 5 */
s_waitcnt lgkmcnt(15)                              // lgkmcnt=0 vmcnt=-1wait for prior local read local write old=2, new=2 newLW=0 newLR=0
v_mfma_f32_16x16x4_f32 v[0+0:3+0], v[vgprG2LA+22+0], v[vgprValuB_X3_I0+0+0+0], v[0:3]
/*  mfmaIndex:49  */
/* localReadsVacancy: latencyLeft 5 */
v_mfma_f32_16x16x4_f32 v[8+0:11+0], v[vgprG2LA+22+0], v[vgprValuB_X3_I0+1+0+0], v[8:11]
/*  mfmaIndex:50  */
/* localReadsVacancy: latencyLeft 5 */
	;; [unrolled: 3-line block ×15, first 2 shown]
v_mfma_f32_16x16x4_f32 v[4+0:7+0], v[vgprG2LA+23+0], v[vgprValuB_X3_I0+0+0+0], v[4:7]
/* numPrefetchIter=0 */
/* dataAtIterA=2 numReadsIterA=4 skipReadsIterA=1 readsPerIterA=2 */
/* dataAtIterB=2 numReadsIterB=4 skipReadsIterB=1 readsPerIterB=8 */


/* iter 4 */

s_waitcnt vmcnt(26)                                // lgkmcnt=-1 vmcnt=26global read wait for DirectToVgpr

/*  grEndMfmaIndex:6, lwStartMfmaIndex:92, lwEndMfmaIndex:111  */
/*  numMfmaForLR:6, barrierMfmaIndex:121, LocalWritePerMfma:0.165 */
/*  mfmaIndex:64  */
/* localReadsVacancy: latencyLeft 5 */
s_waitcnt lgkmcnt(15)                              // lgkmcnt=0 vmcnt=-1wait for prior local read local write old=8, new=8 newLW=0 newLR=0
v_mfma_f32_16x16x4_f32 v[0+0:3+0], v[vgprG2LA+24+0], v[vgprValuB_X4_I0+0+0+0], v[0:3]
/*  mfmaIndex:65  */
/* localReadsVacancy: latencyLeft 5 */
v_mfma_f32_16x16x4_f32 v[8+0:11+0], v[vgprG2LA+24+0], v[vgprValuB_X4_I0+1+0+0], v[8:11]
/*  mfmaIndex:66  */
/* localReadsVacancy: latencyLeft 5 */
	;; [unrolled: 3-line block ×15, first 2 shown]
v_mfma_f32_16x16x4_f32 v[4+0:7+0], v[vgprG2LA+25+0], v[vgprValuB_X4_I0+0+0+0], v[4:7]
/* numPrefetchIter=0 */
/* dataAtIterA=3 numReadsIterA=5 skipReadsIterA=1 readsPerIterA=2 */
/* dataAtIterB=3 numReadsIterB=5 skipReadsIterB=1 readsPerIterB=8 */


/* iter 5 */

s_waitcnt vmcnt(24)                                // lgkmcnt=-1 vmcnt=24global read wait for DirectToVgpr

/*  grEndMfmaIndex:6, lwStartMfmaIndex:92, lwEndMfmaIndex:111  */
/*  numMfmaForLR:6, barrierMfmaIndex:121, LocalWritePerMfma:0.165 */
/*  mfmaIndex:80  */
/* localReadsVacancy: latencyLeft 5 */
s_waitcnt lgkmcnt(15)                              // lgkmcnt=0 vmcnt=-1wait for prior local read local write old=8, new=8 newLW=0 newLR=0
v_mfma_f32_16x16x4_f32 v[0+0:3+0], v[vgprG2LA+26+0], v[vgprValuB_X5_I0+0+0+0], v[0:3]
/*  mfmaIndex:81  */
/* localReadsVacancy: latencyLeft 5 */
v_mfma_f32_16x16x4_f32 v[8+0:11+0], v[vgprG2LA+26+0], v[vgprValuB_X5_I0+1+0+0], v[8:11]
/*  mfmaIndex:82  */
/* localReadsVacancy: latencyLeft 5 */
	;; [unrolled: 3-line block ×11, first 2 shown]
/* 1 LDS buffer: read-sync-write */
s_waitcnt lgkmcnt(0)                               // 
s_barrier                                          // 
v_mfma_f32_16x16x4_f32 v[36+0:39+0], v[vgprG2LA+27+0], v[vgprValuB_X5_I0+4+0+0], v[36:39]
/*  mfmaIndex:92  */
/* localReadsVacancy: latencyLeft 1 */
s_setprio 3                                        // store optimization
/* sched write - iter 5 writesPerItem=1 */
s_waitcnt vmcnt(0)                                 // lgkmcnt=-1 vmcnt=0wait for global read before writing to local
_ds_store_b128 v[vgprLocalWriteAddrB], v[vgprG2LB+0:vgprG2LB+0+3] offset:0 // lwoB_0_0_0_0 = (0*LSCB) + (0*LSPB)(*MT1J+PAD) = 0
v_mfma_f32_16x16x4_f32 v[28+0:31+0], v[vgprG2LA+27+0], v[vgprValuB_X5_I0+3+0+0], v[28:31]
/*  mfmaIndex:93  */
_buffer_load_b128 v[vgprG2LB+0:vgprG2LB+0+3], v[vgprGlobalReadOffsetB+0], s[sgprSrdB:sgprSrdB+3], 0, offen offset:0 // G -> Reg 0_0_0_0
v_mfma_f32_16x16x4_f32 v[20+0:23+0], v[vgprG2LA+27+0], v[vgprValuB_X5_I0+2+0+0], v[20:23]
/*  mfmaIndex:94  */
v_mfma_f32_16x16x4_f32 v[12+0:15+0], v[vgprG2LA+27+0], v[vgprValuB_X5_I0+1+0+0], v[12:15]
/*  mfmaIndex:95  */
v_mfma_f32_16x16x4_f32 v[4+0:7+0], v[vgprG2LA+27+0], v[vgprValuB_X5_I0+0+0+0], v[4:7]
/* numPrefetchIter=0 */
/* dataAtIterA=4 numReadsIterA=6 skipReadsIterA=1 readsPerIterA=2 */
/* dataAtIterB=4 numReadsIterB=6 skipReadsIterB=1 readsPerIterB=8 */


/* iter 6 (reset local read pointers iteration)  (swap and reset local write pointers iteration)  (swap local read pointers iteration)  */

/*  grEndMfmaIndex:6, lwStartMfmaIndex:92, lwEndMfmaIndex:111  */
/*  numMfmaForLR:6, barrierMfmaIndex:121, LocalWritePerMfma:0.165 */
/*  mfmaIndex:96  */
v_mfma_f32_16x16x4_f32 v[0+0:3+0], v[vgprG2LA+28+0], v[vgprValuB_X6_I0+0+0+0], v[0:3]
/*  mfmaIndex:97  */
v_mfma_f32_16x16x4_f32 v[8+0:11+0], v[vgprG2LA+28+0], v[vgprValuB_X6_I0+1+0+0], v[8:11]
/*  mfmaIndex:98  */
/* sched write - iter 6 writesPerItem=1 */
s_waitcnt vmcnt(0)                                 // lgkmcnt=-1 vmcnt=0wait for global read before writing to local
_ds_store_b128 v[vgprLocalWriteAddrB], v[vgprG2LB+4:vgprG2LB+4+3] offset:1152 // lwoB_0_0_1_0 = (0*LSCB) + (1*LSPB)(*MT1J+PAD) = 1152
v_mfma_f32_16x16x4_f32 v[16+0:19+0], v[vgprG2LA+28+0], v[vgprValuB_X6_I0+2+0+0], v[16:19]
/*  mfmaIndex:99  */
_buffer_load_b128 v[vgprG2LB+4:vgprG2LB+4+3], v[vgprGlobalReadOffsetB+1], s[sgprSrdB:sgprSrdB+3], 0, offen offset:0 // G -> Reg 0_0_1_0
v_mfma_f32_16x16x4_f32 v[24+0:27+0], v[vgprG2LA+28+0], v[vgprValuB_X6_I0+3+0+0], v[24:27]
/*  mfmaIndex:100  */
v_mfma_f32_16x16x4_f32 v[32+0:35+0], v[vgprG2LA+28+0], v[vgprValuB_X6_I0+4+0+0], v[32:35]
/*  mfmaIndex:101  */
	;; [unrolled: 2-line block ×5, first 2 shown]
/* sched write - iter 6 writesPerItem=1 */
s_waitcnt vmcnt(0)                                 // lgkmcnt=-1 vmcnt=0wait for global read before writing to local
_ds_store_b128 v[vgprLocalWriteAddrB], v[vgprG2LB+8:vgprG2LB+8+3] offset:2304 // lwoB_0_0_2_0 = (0*LSCB) + (2*LSPB)(*MT1J+PAD) = 2304
v_mfma_f32_16x16x4_f32 v[60+0:63+0], v[vgprG2LA+29+0], v[vgprValuB_X6_I0+7+0+0], v[60:63]
/*  mfmaIndex:105  */
_buffer_load_b128 v[vgprG2LB+8:vgprG2LB+8+3], v[vgprGlobalReadOffsetB+2], s[sgprSrdB:sgprSrdB+3], 0, offen offset:0 // G -> Reg 0_0_2_0
v_mfma_f32_16x16x4_f32 v[52+0:55+0], v[vgprG2LA+29+0], v[vgprValuB_X6_I0+6+0+0], v[52:55]
/*  mfmaIndex:106  */
v_mfma_f32_16x16x4_f32 v[44+0:47+0], v[vgprG2LA+29+0], v[vgprValuB_X6_I0+5+0+0], v[44:47]
/*  mfmaIndex:107  */
	;; [unrolled: 2-line block ×5, first 2 shown]
/* sched write - iter 6 writesPerItem=1 */
s_waitcnt vmcnt(0)                                 // lgkmcnt=-1 vmcnt=0wait for global read before writing to local
_ds_store_b128 v[vgprLocalWriteAddrB], v[vgprG2LB+12:vgprG2LB+12+3] offset:3456 // lwoB_0_0_3_0 = (0*LSCB) + (3*LSPB)(*MT1J+PAD) = 3456
v_mfma_f32_16x16x4_f32 v[12+0:15+0], v[vgprG2LA+29+0], v[vgprValuB_X6_I0+1+0+0], v[12:15]
/*  mfmaIndex:111  */
_buffer_load_b128 v[vgprG2LB+12:vgprG2LB+12+3], v[vgprGlobalReadOffsetB+3], s[sgprSrdB:sgprSrdB+3], 0, offen offset:0 // G -> Reg 0_0_3_0

/* local write swap offsets a */

/* local write swap offsets b */

/* local read swap offsets a */

/* local read swap offsets b */

/* local read init pointers a */

/* local read init pointers b */

/* localReadInitPointers */
v_mfma_f32_16x16x4_f32 v[4+0:7+0], v[vgprG2LA+29+0], v[vgprValuB_X6_I0+0+0+0], v[4:7]


/* iter 7 */

/*  grEndMfmaIndex:6, lwStartMfmaIndex:92, lwEndMfmaIndex:111  */
/*  numMfmaForLR:6, barrierMfmaIndex:121, LocalWritePerMfma:0.165 */
/*  mfmaIndex:112  */
v_mfma_f32_16x16x4_f32 v[0+0:3+0], v[vgprG2LA+30+0], v[vgprValuB_X7_I0+0+0+0], v[0:3]
_buffer_load_b32 v[vgprG2LA1+0], v[vgprGlobalReadOffsetA+0], s[sgprSrdA:sgprSrdA+3], 0, offen offset:0 // G -> Reg 0_0_0_0
/*  mfmaIndex:113  */
v_mfma_f32_16x16x4_f32 v[8+0:11+0], v[vgprG2LA+30+0], v[vgprValuB_X7_I0+1+0+0], v[8:11]
_buffer_load_b32 v[vgprG2LA1+1], v[vgprGlobalReadOffsetA+1], s[sgprSrdA:sgprSrdA+3], 0, offen offset:0 // G -> Reg 1_0_0_0
/*  mfmaIndex:114  */
v_mfma_f32_16x16x4_f32 v[16+0:19+0], v[vgprG2LA+30+0], v[vgprValuB_X7_I0+2+0+0], v[16:19]
_buffer_load_b32 v[vgprG2LA1+2], v[vgprGlobalReadOffsetA+2], s[sgprSrdA:sgprSrdA+3], 0, offen offset:0 // G -> Reg 0_0_1_0
/*  mfmaIndex:115  */
v_mfma_f32_16x16x4_f32 v[24+0:27+0], v[vgprG2LA+30+0], v[vgprValuB_X7_I0+3+0+0], v[24:27]
_buffer_load_b32 v[vgprG2LA1+3], v[vgprGlobalReadOffsetA+3], s[sgprSrdA:sgprSrdA+3], 0, offen offset:0 // G -> Reg 1_0_1_0
/*  mfmaIndex:116  */
v_mfma_f32_16x16x4_f32 v[32+0:35+0], v[vgprG2LA+30+0], v[vgprValuB_X7_I0+4+0+0], v[32:35]
_buffer_load_b32 v[vgprG2LA1+4], v[vgprGlobalReadOffsetA+4], s[sgprSrdA:sgprSrdA+3], 0, offen offset:0 // G -> Reg 0_0_2_0
/*  mfmaIndex:117  */
v_mfma_f32_16x16x4_f32 v[40+0:43+0], v[vgprG2LA+30+0], v[vgprValuB_X7_I0+5+0+0], v[40:43]
_buffer_load_b32 v[vgprG2LA1+5], v[vgprGlobalReadOffsetA+5], s[sgprSrdA:sgprSrdA+3], 0, offen offset:0 // G -> Reg 1_0_2_0
/*  mfmaIndex:118  */
v_mfma_f32_16x16x4_f32 v[48+0:51+0], v[vgprG2LA+30+0], v[vgprValuB_X7_I0+6+0+0], v[48:51]
_buffer_load_b32 v[vgprG2LA1+6], v[vgprGlobalReadOffsetA+6], s[sgprSrdA:sgprSrdA+3], 0, offen offset:0 // G -> Reg 0_0_3_0
/*  mfmaIndex:119  */
v_mfma_f32_16x16x4_f32 v[56+0:59+0], v[vgprG2LA+30+0], v[vgprValuB_X7_I0+7+0+0], v[56:59]
_buffer_load_b32 v[vgprG2LA1+7], v[vgprGlobalReadOffsetA+7], s[sgprSrdA:sgprSrdA+3], 0, offen offset:0 // G -> Reg 1_0_3_0
/*  mfmaIndex:120  */
v_mfma_f32_16x16x4_f32 v[4+0:7+0], v[vgprG2LA+31+0], v[vgprValuB_X7_I0+0+0+0], v[4:7]
_buffer_load_b32 v[vgprG2LA1+8], v[vgprGlobalReadOffsetA+8], s[sgprSrdA:sgprSrdA+3], 0, offen offset:0 // G -> Reg 0_0_4_0
s_setprio 0                                        // store optimization
/*  mfmaIndex:121  */
s_waitcnt lgkmcnt(0)                               // lgkmcnt=0 vmcnt=-13wait for local write
s_barrier
v_mfma_f32_16x16x4_f32 v[12+0:15+0], v[vgprG2LA+31+0], v[vgprValuB_X7_I0+1+0+0], v[12:15]
_buffer_load_b32 v[vgprG2LA1+9], v[vgprGlobalReadOffsetA+9], s[sgprSrdA:sgprSrdA+3], 0, offen offset:0 // G -> Reg 1_0_4_0
/*  mfmaIndex:122  */
s_setprio 3                                        // store optimization
_ds_load_b32 v[vgprValuB_X0_I0+0], v[vgprLocalReadAddrB] offset:0 // L -> Reg lro=0 swapByteOffset=0 ti=16 vIdx=0 rIdx=0 oIdx=0 buffer=0 iui=0
_ds_load_b32 v[vgprValuB_X0_I0+1], v[vgprLocalReadAddrB] offset:64 // L -> Reg lro=0 swapByteOffset=0 ti=16 vIdx=1 rIdx=0 oIdx=0 buffer=0 iui=0
v_mfma_f32_16x16x4_f32 v[20+0:23+0], v[vgprG2LA+31+0], v[vgprValuB_X7_I0+2+0+0], v[20:23]
_buffer_load_b32 v[vgprG2LA1+10], v[vgprGlobalReadOffsetA+10], s[sgprSrdA:sgprSrdA+3], 0, offen offset:0 // G -> Reg 0_0_5_0
/*  mfmaIndex:123  */
_ds_load_b32 v[vgprValuB_X0_I0+2], v[vgprLocalReadAddrB] offset:128 // L -> Reg lro=0 swapByteOffset=0 ti=16 vIdx=2 rIdx=0 oIdx=0 buffer=0 iui=0
_ds_load_b32 v[vgprValuB_X0_I0+3], v[vgprLocalReadAddrB] offset:192 // L -> Reg lro=0 swapByteOffset=0 ti=16 vIdx=3 rIdx=0 oIdx=0 buffer=0 iui=0
v_mfma_f32_16x16x4_f32 v[28+0:31+0], v[vgprG2LA+31+0], v[vgprValuB_X7_I0+3+0+0], v[28:31]
_buffer_load_b32 v[vgprG2LA1+11], v[vgprGlobalReadOffsetA+11], s[sgprSrdA:sgprSrdA+3], 0, offen offset:0 // G -> Reg 1_0_5_0
/*  mfmaIndex:124  */
_ds_load_b32 v[vgprValuB_X0_I0+4], v[vgprLocalReadAddrB] offset:256 // L -> Reg lro=0 swapByteOffset=0 ti=16 vIdx=4 rIdx=0 oIdx=0 buffer=0 iui=0
_ds_load_b32 v[vgprValuB_X0_I0+5], v[vgprLocalReadAddrB] offset:320 // L -> Reg lro=0 swapByteOffset=0 ti=16 vIdx=5 rIdx=0 oIdx=0 buffer=0 iui=0
v_mfma_f32_16x16x4_f32 v[36+0:39+0], v[vgprG2LA+31+0], v[vgprValuB_X7_I0+4+0+0], v[36:39]
_buffer_load_b32 v[vgprG2LA1+12], v[vgprGlobalReadOffsetA+12], s[sgprSrdA:sgprSrdA+3], 0, offen offset:0 // G -> Reg 0_0_6_0
/*  mfmaIndex:125  */
_ds_load_b32 v[vgprValuB_X0_I0+6], v[vgprLocalReadAddrB] offset:384 // L -> Reg lro=0 swapByteOffset=0 ti=16 vIdx=6 rIdx=0 oIdx=0 buffer=0 iui=0
_ds_load_b32 v[vgprValuB_X0_I0+7], v[vgprLocalReadAddrB] offset:448 // L -> Reg lro=0 swapByteOffset=0 ti=16 vIdx=7 rIdx=0 oIdx=0 buffer=0 iui=0
v_mfma_f32_16x16x4_f32 v[44+0:47+0], v[vgprG2LA+31+0], v[vgprValuB_X7_I0+5+0+0], v[44:47]
_buffer_load_b32 v[vgprG2LA1+13], v[vgprGlobalReadOffsetA+13], s[sgprSrdA:sgprSrdA+3], 0, offen offset:0 // G -> Reg 1_0_6_0
/*  mfmaIndex:126  */
v_mfma_f32_16x16x4_f32 v[52+0:55+0], v[vgprG2LA+31+0], v[vgprValuB_X7_I0+6+0+0], v[52:55]
_buffer_load_b32 v[vgprG2LA1+14], v[vgprGlobalReadOffsetA+14], s[sgprSrdA:sgprSrdA+3], 0, offen offset:0 // G -> Reg 0_0_7_0
/*  mfmaIndex:127  */
v_mfma_f32_16x16x4_f32 v[60+0:63+0], v[vgprG2LA+31+0], v[vgprValuB_X7_I0+7+0+0], v[60:63]
_buffer_load_b32 v[vgprG2LA1+15], v[vgprGlobalReadOffsetA+15], s[sgprSrdA:sgprSrdA+3], 0, offen offset:0 // G -> Reg 1_0_7_0
s_setprio 0                                        // store optimization


/******************************************/
/* Unrolled Loop - End 2/2 (final)        */
/******************************************/


/* closeLoop loopL finalLoop=1 tailLoop=0 */
s_sub_u32 s[sgprLoopCounterL], s[sgprLoopCounterL], 1 // dec counterL
s_cmp_eq_i32 s[sgprLoopCounterL], 0x2              // counterL==2
s_cbranch_scc0 LoopBeginL_1                        // restart LoopL
LoopEndL_evenexit_4: // unroll loop eveniter exit
s_branch LoopEndL_2                                // exit unroll loopL (and skip second exit code)
LoopEndL_oddexit_3: // unroll loop odditer exit

/* Select high bank of LDS */
LoopEndL_2:


/* Before NLL: Check VGPR.checkin for INT8 LW */


/******************************************/
/* Ord. NoGlobalLoadLoop - Begin                                      */
/******************************************/


s_and_b32 s53, s[sgprOrigLoopCounter], 1           // test if OrigLoopCounter is Odd ?
s_cbranch_scc0 label_0017                          // Skip odd code if OrigLoopCounter is Even


/* iter 0 */

s_waitcnt vmcnt(34)                                // lgkmcnt=-1 vmcnt=34global read wait for DirectToVgpr

/*  grEndMfmaIndex:6, lwStartMfmaIndex:92, lwEndMfmaIndex:111  */
/*  numMfmaForLR:6, barrierMfmaIndex:121, LocalWritePerMfma:0.165 */
/*  mfmaIndex:0  */
s_waitcnt lgkmcnt(0)                               // lgkmcnt=0 vmcnt=-1wait for prior local read local write old=0, new=0 newLW=0 newLR=0
v_mfma_f32_16x16x4_f32 v[0+0:3+0], v[vgprG2LA+16+0], v[vgprValuB_X0_I0+0+0+0], v[0:3]
/*  mfmaIndex:1  */
_ds_load_b32 v[vgprValuB_X1_I0+0], v[vgprLocalReadAddrB] offset:2304 // L -> Reg lro=576 swapByteOffset=0 ti=16 vIdx=0 rIdx=0 oIdx=0 buffer=1 iui=0
_ds_load_b32 v[vgprValuB_X1_I0+1], v[vgprLocalReadAddrB] offset:2368 // L -> Reg lro=576 swapByteOffset=0 ti=16 vIdx=1 rIdx=0 oIdx=0 buffer=1 iui=0

/* global read inc B loopL */
s_cmp_eq_u32 s[sgprLoopCounterL], s[sgprStaggerUIter] // Is this the wrapIter?
s_cselect_b32 s54, s[sgprWrapUB+0], s[sgprGlobalReadIncsB+0] // incLower <- ?
s_cselect_b32 s55, s[sgprWrapUB+1], 0              // incUpper <- ?
v_mfma_f32_16x16x4_f32 v[8+0:11+0], v[vgprG2LA+16+0], v[vgprValuB_X0_I0+1+0+0], v[8:11]
/*  mfmaIndex:2  */
_ds_load_b32 v[vgprValuB_X1_I0+2], v[vgprLocalReadAddrB] offset:2432 // L -> Reg lro=576 swapByteOffset=0 ti=16 vIdx=2 rIdx=0 oIdx=0 buffer=1 iui=0
_ds_load_b32 v[vgprValuB_X1_I0+3], v[vgprLocalReadAddrB] offset:2496 // L -> Reg lro=576 swapByteOffset=0 ti=16 vIdx=3 rIdx=0 oIdx=0 buffer=1 iui=0
s_add_u32 s[sgprSrdB+0], s[sgprSrdB+0], s54        // gra SRD += inc(lower)
s_addc_u32  s[sgprSrdB+1], s[sgprSrdB+1], s55      // gra SRD += inc(upper)
s_sub_u32 s[sgprShadowLimitB+0], s[sgprShadowLimitB+0], s54 // limit -= inc)
v_mfma_f32_16x16x4_f32 v[16+0:19+0], v[vgprG2LA+16+0], v[vgprValuB_X0_I0+2+0+0], v[16:19]
/*  mfmaIndex:3  */
_ds_load_b32 v[vgprValuB_X1_I0+4], v[vgprLocalReadAddrB] offset:2560 // L -> Reg lro=576 swapByteOffset=0 ti=16 vIdx=4 rIdx=0 oIdx=0 buffer=1 iui=0
_ds_load_b32 v[vgprValuB_X1_I0+5], v[vgprLocalReadAddrB] offset:2624 // L -> Reg lro=576 swapByteOffset=0 ti=16 vIdx=5 rIdx=0 oIdx=0 buffer=1 iui=0
s_subb_u32 s[sgprShadowLimitB+1], s[sgprShadowLimitB+1], s55 // limit -= inc)
s_cmp_eq_u32 s[sgprShadowLimitB+1], 0              // are we within 2^32?
s_cselect_b32 s[sgprSrdB+2], s[sgprShadowLimitB+0], BufferLimitB // Move shadow to real if we are within 2^32
v_mfma_f32_16x16x4_f32 v[24+0:27+0], v[vgprG2LA+16+0], v[vgprValuB_X0_I0+3+0+0], v[24:27]
/*  mfmaIndex:4  */
_ds_load_b32 v[vgprValuB_X1_I0+6], v[vgprLocalReadAddrB] offset:2688 // L -> Reg lro=576 swapByteOffset=0 ti=16 vIdx=6 rIdx=0 oIdx=0 buffer=1 iui=0
_ds_load_b32 v[vgprValuB_X1_I0+7], v[vgprLocalReadAddrB] offset:2752 // L -> Reg lro=576 swapByteOffset=0 ti=16 vIdx=7 rIdx=0 oIdx=0 buffer=1 iui=0
/* localReadsVacancy: latencyLeft 1 */

/* global read inc A loopL */
s_cmp_eq_u32 s[sgprLoopCounterL], s[sgprStaggerUIter] // Is this the wrapIter?
s_cselect_b32 s54, s[sgprWrapUA+0], s[sgprGlobalReadIncsA+0] // incLower <- ?
s_cselect_b32 s55, s[sgprWrapUA+1], 0              // incUpper <- ?
v_mfma_f32_16x16x4_f32 v[32+0:35+0], v[vgprG2LA+16+0], v[vgprValuB_X0_I0+4+0+0], v[32:35]
/*  mfmaIndex:5  */
/* localReadsVacancy: latencyLeft 5 */
_ds_load_b32 v[vgprValuB_X2_I0+0], v[vgprLocalReadAddrB] offset:4608 // L -> Reg lro=1152 swapByteOffset=0 ti=16 vIdx=0 rIdx=0 oIdx=0 buffer=2 iui=0
_ds_load_b32 v[vgprValuB_X2_I0+1], v[vgprLocalReadAddrB] offset:4672 // L -> Reg lro=1152 swapByteOffset=0 ti=16 vIdx=1 rIdx=0 oIdx=0 buffer=2 iui=0
s_add_u32 s[sgprSrdA+0], s[sgprSrdA+0], s54        // gra SRD += inc(lower)
s_addc_u32  s[sgprSrdA+1], s[sgprSrdA+1], s55      // gra SRD += inc(upper)
s_sub_u32 s[sgprShadowLimitA+0], s[sgprShadowLimitA+0], s54 // limit -= inc)
v_mfma_f32_16x16x4_f32 v[40+0:43+0], v[vgprG2LA+16+0], v[vgprValuB_X0_I0+5+0+0], v[40:43]
/*  mfmaIndex:6  */
/* localReadsVacancy: latencyLeft 5 */
_ds_load_b32 v[vgprValuB_X2_I0+2], v[vgprLocalReadAddrB] offset:4736 // L -> Reg lro=1152 swapByteOffset=0 ti=16 vIdx=2 rIdx=0 oIdx=0 buffer=2 iui=0
_ds_load_b32 v[vgprValuB_X2_I0+3], v[vgprLocalReadAddrB] offset:4800 // L -> Reg lro=1152 swapByteOffset=0 ti=16 vIdx=3 rIdx=0 oIdx=0 buffer=2 iui=0
s_subb_u32 s[sgprShadowLimitA+1], s[sgprShadowLimitA+1], s55 // limit -= inc)
s_cmp_eq_u32 s[sgprShadowLimitA+1], 0              // are we within 2^32?
s_cselect_b32 s[sgprSrdA+2], s[sgprShadowLimitA+0], BufferLimitA // Move shadow to real if we are within 2^32
v_mfma_f32_16x16x4_f32 v[48+0:51+0], v[vgprG2LA+16+0], v[vgprValuB_X0_I0+6+0+0], v[48:51]
/*  mfmaIndex:7  */
/* localReadsVacancy: latencyLeft 5 */
_ds_load_b32 v[vgprValuB_X2_I0+4], v[vgprLocalReadAddrB] offset:4864 // L -> Reg lro=1152 swapByteOffset=0 ti=16 vIdx=4 rIdx=0 oIdx=0 buffer=2 iui=0
_ds_load_b32 v[vgprValuB_X2_I0+5], v[vgprLocalReadAddrB] offset:4928 // L -> Reg lro=1152 swapByteOffset=0 ti=16 vIdx=5 rIdx=0 oIdx=0 buffer=2 iui=0
v_mfma_f32_16x16x4_f32 v[56+0:59+0], v[vgprG2LA+16+0], v[vgprValuB_X0_I0+7+0+0], v[56:59]
/*  mfmaIndex:8  */
/* localReadsVacancy: latencyLeft 5 */
_ds_load_b32 v[vgprValuB_X2_I0+6], v[vgprLocalReadAddrB] offset:4992 // L -> Reg lro=1152 swapByteOffset=0 ti=16 vIdx=6 rIdx=0 oIdx=0 buffer=2 iui=0
_ds_load_b32 v[vgprValuB_X2_I0+7], v[vgprLocalReadAddrB] offset:5056 // L -> Reg lro=1152 swapByteOffset=0 ti=16 vIdx=7 rIdx=0 oIdx=0 buffer=2 iui=0
v_mfma_f32_16x16x4_f32 v[60+0:63+0], v[vgprG2LA+17+0], v[vgprValuB_X0_I0+7+0+0], v[60:63]
/*  mfmaIndex:9  */
/* localReadsVacancy: latencyLeft 5 */
_ds_load_b32 v[vgprValuB_X3_I0+0], v[vgprLocalReadAddrB] offset:6912 // L -> Reg lro=1728 swapByteOffset=0 ti=16 vIdx=0 rIdx=0 oIdx=0 buffer=3 iui=0
_ds_load_b32 v[vgprValuB_X3_I0+1], v[vgprLocalReadAddrB] offset:6976 // L -> Reg lro=1728 swapByteOffset=0 ti=16 vIdx=1 rIdx=0 oIdx=0 buffer=3 iui=0
v_mfma_f32_16x16x4_f32 v[52+0:55+0], v[vgprG2LA+17+0], v[vgprValuB_X0_I0+6+0+0], v[52:55]
/*  mfmaIndex:10  */
/* localReadsVacancy: latencyLeft 5 */
_ds_load_b32 v[vgprValuB_X3_I0+2], v[vgprLocalReadAddrB] offset:7040 // L -> Reg lro=1728 swapByteOffset=0 ti=16 vIdx=2 rIdx=0 oIdx=0 buffer=3 iui=0
_ds_load_b32 v[vgprValuB_X3_I0+3], v[vgprLocalReadAddrB] offset:7104 // L -> Reg lro=1728 swapByteOffset=0 ti=16 vIdx=3 rIdx=0 oIdx=0 buffer=3 iui=0
	;; [unrolled: 5-line block ×4, first 2 shown]
v_mfma_f32_16x16x4_f32 v[28+0:31+0], v[vgprG2LA+17+0], v[vgprValuB_X0_I0+3+0+0], v[28:31]
/*  mfmaIndex:13  */
/* localReadsVacancy: latencyLeft 5 */
_ds_load_b32 v[vgprValuB_X4_I0+0], v[vgprLocalReadAddrB] offset:9216 // L -> Reg lro=2304 swapByteOffset=0 ti=16 vIdx=0 rIdx=0 oIdx=0 buffer=4 iui=0
_ds_load_b32 v[vgprValuB_X4_I0+1], v[vgprLocalReadAddrB] offset:9280 // L -> Reg lro=2304 swapByteOffset=0 ti=16 vIdx=1 rIdx=0 oIdx=0 buffer=4 iui=0
v_mfma_f32_16x16x4_f32 v[20+0:23+0], v[vgprG2LA+17+0], v[vgprValuB_X0_I0+2+0+0], v[20:23]
/*  mfmaIndex:14  */
/* localReadsVacancy: latencyLeft 5 */
_ds_load_b32 v[vgprValuB_X4_I0+2], v[vgprLocalReadAddrB] offset:9344 // L -> Reg lro=2304 swapByteOffset=0 ti=16 vIdx=2 rIdx=0 oIdx=0 buffer=4 iui=0
_ds_load_b32 v[vgprValuB_X4_I0+3], v[vgprLocalReadAddrB] offset:9408 // L -> Reg lro=2304 swapByteOffset=0 ti=16 vIdx=3 rIdx=0 oIdx=0 buffer=4 iui=0
	;; [unrolled: 5-line block ×3, first 2 shown]
v_mfma_f32_16x16x4_f32 v[4+0:7+0], v[vgprG2LA+17+0], v[vgprValuB_X0_I0+0+0+0], v[4:7]
/* numPrefetchIter=0 */
/* dataAtIterA=-1 numReadsIterA=1 skipReadsIterA=1 readsPerIterA=2 */
/* dataAtIterB=-1 numReadsIterB=1 skipReadsIterB=1 readsPerIterB=8 */


/* iter 1 */

s_waitcnt vmcnt(32)                                // lgkmcnt=-1 vmcnt=32global read wait for DirectToVgpr

/*  grEndMfmaIndex:6, lwStartMfmaIndex:92, lwEndMfmaIndex:111  */
/*  numMfmaForLR:6, barrierMfmaIndex:121, LocalWritePerMfma:0.165 */
/*  mfmaIndex:16  */
/* localReadsVacancy: latencyLeft 5 */
_ds_load_b32 v[vgprValuB_X4_I0+6], v[vgprLocalReadAddrB] offset:9600 // L -> Reg lro=2304 swapByteOffset=0 ti=16 vIdx=6 rIdx=0 oIdx=0 buffer=4 iui=0
_ds_load_b32 v[vgprValuB_X4_I0+7], v[vgprLocalReadAddrB] offset:9664 // L -> Reg lro=2304 swapByteOffset=0 ti=16 vIdx=7 rIdx=0 oIdx=0 buffer=4 iui=0
s_waitcnt lgkmcnt(15)                              // lgkmcnt=0 vmcnt=-1wait for prior local read local write old=8, new=8 newLW=0 newLR=0
v_mfma_f32_16x16x4_f32 v[0+0:3+0], v[vgprG2LA+18+0], v[vgprValuB_X1_I0+0+0+0], v[0:3]
/*  mfmaIndex:17  */
/* localReadsVacancy: latencyLeft 5 */
_ds_load_b32 v[vgprValuB_X5_I0+0], v[vgprLocalReadAddrB] offset:11520 // L -> Reg lro=2880 swapByteOffset=0 ti=16 vIdx=0 rIdx=0 oIdx=0 buffer=5 iui=0
_ds_load_b32 v[vgprValuB_X5_I0+1], v[vgprLocalReadAddrB] offset:11584 // L -> Reg lro=2880 swapByteOffset=0 ti=16 vIdx=1 rIdx=0 oIdx=0 buffer=5 iui=0
v_mfma_f32_16x16x4_f32 v[8+0:11+0], v[vgprG2LA+18+0], v[vgprValuB_X1_I0+1+0+0], v[8:11]
/*  mfmaIndex:18  */
/* localReadsVacancy: latencyLeft 5 */
_ds_load_b32 v[vgprValuB_X5_I0+2], v[vgprLocalReadAddrB] offset:11648 // L -> Reg lro=2880 swapByteOffset=0 ti=16 vIdx=2 rIdx=0 oIdx=0 buffer=5 iui=0
_ds_load_b32 v[vgprValuB_X5_I0+3], v[vgprLocalReadAddrB] offset:11712 // L -> Reg lro=2880 swapByteOffset=0 ti=16 vIdx=3 rIdx=0 oIdx=0 buffer=5 iui=0
	;; [unrolled: 5-line block ×4, first 2 shown]
v_mfma_f32_16x16x4_f32 v[32+0:35+0], v[vgprG2LA+18+0], v[vgprValuB_X1_I0+4+0+0], v[32:35]
/*  mfmaIndex:21  */
/* localReadsVacancy: latencyLeft 5 */
_ds_load_b32 v[vgprValuB_X6_I0+0], v[vgprLocalReadAddrB] offset:13824 // L -> Reg lro=3456 swapByteOffset=0 ti=16 vIdx=0 rIdx=0 oIdx=0 buffer=6 iui=0
_ds_load_b32 v[vgprValuB_X6_I0+1], v[vgprLocalReadAddrB] offset:13888 // L -> Reg lro=3456 swapByteOffset=0 ti=16 vIdx=1 rIdx=0 oIdx=0 buffer=6 iui=0
v_mfma_f32_16x16x4_f32 v[40+0:43+0], v[vgprG2LA+18+0], v[vgprValuB_X1_I0+5+0+0], v[40:43]
/*  mfmaIndex:22  */
/* localReadsVacancy: latencyLeft 5 */
_ds_load_b32 v[vgprValuB_X6_I0+2], v[vgprLocalReadAddrB] offset:13952 // L -> Reg lro=3456 swapByteOffset=0 ti=16 vIdx=2 rIdx=0 oIdx=0 buffer=6 iui=0
_ds_load_b32 v[vgprValuB_X6_I0+3], v[vgprLocalReadAddrB] offset:14016 // L -> Reg lro=3456 swapByteOffset=0 ti=16 vIdx=3 rIdx=0 oIdx=0 buffer=6 iui=0
	;; [unrolled: 5-line block ×4, first 2 shown]
v_mfma_f32_16x16x4_f32 v[60+0:63+0], v[vgprG2LA+19+0], v[vgprValuB_X1_I0+7+0+0], v[60:63]
/*  mfmaIndex:25  */
/* localReadsVacancy: latencyLeft 5 */
_ds_load_b32 v[vgprValuB_X7_I0+0], v[vgprLocalReadAddrB] offset:16128 // L -> Reg lro=4032 swapByteOffset=0 ti=16 vIdx=0 rIdx=0 oIdx=0 buffer=7 iui=0
_ds_load_b32 v[vgprValuB_X7_I0+1], v[vgprLocalReadAddrB] offset:16192 // L -> Reg lro=4032 swapByteOffset=0 ti=16 vIdx=1 rIdx=0 oIdx=0 buffer=7 iui=0
v_mfma_f32_16x16x4_f32 v[52+0:55+0], v[vgprG2LA+19+0], v[vgprValuB_X1_I0+6+0+0], v[52:55]
/*  mfmaIndex:26  */
/* localReadsVacancy: latencyLeft 5 */
_ds_load_b32 v[vgprValuB_X7_I0+2], v[vgprLocalReadAddrB] offset:16256 // L -> Reg lro=4032 swapByteOffset=0 ti=16 vIdx=2 rIdx=0 oIdx=0 buffer=7 iui=0
_ds_load_b32 v[vgprValuB_X7_I0+3], v[vgprLocalReadAddrB] offset:16320 // L -> Reg lro=4032 swapByteOffset=0 ti=16 vIdx=3 rIdx=0 oIdx=0 buffer=7 iui=0
	;; [unrolled: 5-line block ×4, first 2 shown]
v_mfma_f32_16x16x4_f32 v[28+0:31+0], v[vgprG2LA+19+0], v[vgprValuB_X1_I0+3+0+0], v[28:31]
/*  mfmaIndex:29  */
/* localReadsVacancy: latencyLeft 5 */
v_mfma_f32_16x16x4_f32 v[20+0:23+0], v[vgprG2LA+19+0], v[vgprValuB_X1_I0+2+0+0], v[20:23]
/*  mfmaIndex:30  */
/* localReadsVacancy: latencyLeft 5 */
	;; [unrolled: 3-line block ×3, first 2 shown]
v_mfma_f32_16x16x4_f32 v[4+0:7+0], v[vgprG2LA+19+0], v[vgprValuB_X1_I0+0+0+0], v[4:7]
/* numPrefetchIter=0 */
/* dataAtIterA=0 numReadsIterA=2 skipReadsIterA=1 readsPerIterA=2 */
/* dataAtIterB=0 numReadsIterB=2 skipReadsIterB=1 readsPerIterB=8 */


/* iter 2 */

s_waitcnt vmcnt(30)                                // lgkmcnt=-1 vmcnt=30global read wait for DirectToVgpr

/*  grEndMfmaIndex:6, lwStartMfmaIndex:92, lwEndMfmaIndex:111  */
/*  numMfmaForLR:6, barrierMfmaIndex:121, LocalWritePerMfma:0.165 */
/*  mfmaIndex:32  */
/* localReadsVacancy: latencyLeft 5 */
s_waitcnt lgkmcnt(15)                              // lgkmcnt=0 vmcnt=-1wait for prior local read local write old=0, new=0 newLW=0 newLR=0
v_mfma_f32_16x16x4_f32 v[0+0:3+0], v[vgprG2LA+20+0], v[vgprValuB_X2_I0+0+0+0], v[0:3]
/*  mfmaIndex:33  */
/* localReadsVacancy: latencyLeft 5 */
v_mfma_f32_16x16x4_f32 v[8+0:11+0], v[vgprG2LA+20+0], v[vgprValuB_X2_I0+1+0+0], v[8:11]
/*  mfmaIndex:34  */
/* localReadsVacancy: latencyLeft 5 */
	;; [unrolled: 3-line block ×15, first 2 shown]
v_mfma_f32_16x16x4_f32 v[4+0:7+0], v[vgprG2LA+21+0], v[vgprValuB_X2_I0+0+0+0], v[4:7]
/* numPrefetchIter=0 */
/* dataAtIterA=1 numReadsIterA=3 skipReadsIterA=1 readsPerIterA=2 */
/* dataAtIterB=1 numReadsIterB=3 skipReadsIterB=1 readsPerIterB=8 */


/* iter 3 */

s_waitcnt vmcnt(28)                                // lgkmcnt=-1 vmcnt=28global read wait for DirectToVgpr

/*  grEndMfmaIndex:6, lwStartMfmaIndex:92, lwEndMfmaIndex:111  */
/*  numMfmaForLR:6, barrierMfmaIndex:121, LocalWritePerMfma:0.165 */
/*  mfmaIndex:48  */
/* localReadsVacancy: latencyLeft 5 */
s_waitcnt lgkmcnt(15)                              // lgkmcnt=0 vmcnt=-1wait for prior local read local write old=2, new=2 newLW=0 newLR=0
v_mfma_f32_16x16x4_f32 v[0+0:3+0], v[vgprG2LA+22+0], v[vgprValuB_X3_I0+0+0+0], v[0:3]
/*  mfmaIndex:49  */
/* localReadsVacancy: latencyLeft 5 */
v_mfma_f32_16x16x4_f32 v[8+0:11+0], v[vgprG2LA+22+0], v[vgprValuB_X3_I0+1+0+0], v[8:11]
/*  mfmaIndex:50  */
/* localReadsVacancy: latencyLeft 5 */
	;; [unrolled: 3-line block ×15, first 2 shown]
v_mfma_f32_16x16x4_f32 v[4+0:7+0], v[vgprG2LA+23+0], v[vgprValuB_X3_I0+0+0+0], v[4:7]
/* numPrefetchIter=0 */
/* dataAtIterA=2 numReadsIterA=4 skipReadsIterA=1 readsPerIterA=2 */
/* dataAtIterB=2 numReadsIterB=4 skipReadsIterB=1 readsPerIterB=8 */


/* iter 4 */

s_waitcnt vmcnt(26)                                // lgkmcnt=-1 vmcnt=26global read wait for DirectToVgpr

/*  grEndMfmaIndex:6, lwStartMfmaIndex:92, lwEndMfmaIndex:111  */
/*  numMfmaForLR:6, barrierMfmaIndex:121, LocalWritePerMfma:0.165 */
/*  mfmaIndex:64  */
/* localReadsVacancy: latencyLeft 5 */
s_waitcnt lgkmcnt(15)                              // lgkmcnt=0 vmcnt=-1wait for prior local read local write old=8, new=8 newLW=0 newLR=0
v_mfma_f32_16x16x4_f32 v[0+0:3+0], v[vgprG2LA+24+0], v[vgprValuB_X4_I0+0+0+0], v[0:3]
/*  mfmaIndex:65  */
/* localReadsVacancy: latencyLeft 5 */
v_mfma_f32_16x16x4_f32 v[8+0:11+0], v[vgprG2LA+24+0], v[vgprValuB_X4_I0+1+0+0], v[8:11]
/*  mfmaIndex:66  */
/* localReadsVacancy: latencyLeft 5 */
	;; [unrolled: 3-line block ×15, first 2 shown]
v_mfma_f32_16x16x4_f32 v[4+0:7+0], v[vgprG2LA+25+0], v[vgprValuB_X4_I0+0+0+0], v[4:7]
/* numPrefetchIter=0 */
/* dataAtIterA=3 numReadsIterA=5 skipReadsIterA=1 readsPerIterA=2 */
/* dataAtIterB=3 numReadsIterB=5 skipReadsIterB=1 readsPerIterB=8 */


/* iter 5 */

s_waitcnt vmcnt(24)                                // lgkmcnt=-1 vmcnt=24global read wait for DirectToVgpr

/*  grEndMfmaIndex:6, lwStartMfmaIndex:92, lwEndMfmaIndex:111  */
/*  numMfmaForLR:6, barrierMfmaIndex:121, LocalWritePerMfma:0.165 */
/*  mfmaIndex:80  */
/* localReadsVacancy: latencyLeft 5 */
s_waitcnt lgkmcnt(15)                              // lgkmcnt=0 vmcnt=-1wait for prior local read local write old=8, new=8 newLW=0 newLR=0
v_mfma_f32_16x16x4_f32 v[0+0:3+0], v[vgprG2LA+26+0], v[vgprValuB_X5_I0+0+0+0], v[0:3]
/*  mfmaIndex:81  */
/* localReadsVacancy: latencyLeft 5 */
v_mfma_f32_16x16x4_f32 v[8+0:11+0], v[vgprG2LA+26+0], v[vgprValuB_X5_I0+1+0+0], v[8:11]
/*  mfmaIndex:82  */
/* localReadsVacancy: latencyLeft 5 */
	;; [unrolled: 3-line block ×11, first 2 shown]
/* 1 LDS buffer: read-sync-write */
s_waitcnt lgkmcnt(0)                               // 
s_barrier                                          // 
v_mfma_f32_16x16x4_f32 v[36+0:39+0], v[vgprG2LA+27+0], v[vgprValuB_X5_I0+4+0+0], v[36:39]
/*  mfmaIndex:92  */
/* localReadsVacancy: latencyLeft 1 */
s_setprio 3                                        // store optimization
/* sched write - iter 5 writesPerItem=1 */
s_waitcnt vmcnt(0)                                 // lgkmcnt=-1 vmcnt=0wait for global read before writing to local
_ds_store_b128 v[vgprLocalWriteAddrB], v[vgprG2LB+0:vgprG2LB+0+3] offset:0 // lwoB_0_0_0_0 = (0*LSCB) + (0*LSPB)(*MT1J+PAD) = 0
v_mfma_f32_16x16x4_f32 v[28+0:31+0], v[vgprG2LA+27+0], v[vgprValuB_X5_I0+3+0+0], v[28:31]
/*  mfmaIndex:93  */
v_mfma_f32_16x16x4_f32 v[20+0:23+0], v[vgprG2LA+27+0], v[vgprValuB_X5_I0+2+0+0], v[20:23]
/*  mfmaIndex:94  */
	;; [unrolled: 2-line block ×3, first 2 shown]
v_mfma_f32_16x16x4_f32 v[4+0:7+0], v[vgprG2LA+27+0], v[vgprValuB_X5_I0+0+0+0], v[4:7]
/* numPrefetchIter=0 */
/* dataAtIterA=4 numReadsIterA=6 skipReadsIterA=1 readsPerIterA=2 */
/* dataAtIterB=4 numReadsIterB=6 skipReadsIterB=1 readsPerIterB=8 */


/* iter 6 (reset local read pointers iteration)  (swap and reset local write pointers iteration)  (swap local read pointers iteration)  */

/*  grEndMfmaIndex:6, lwStartMfmaIndex:92, lwEndMfmaIndex:111  */
/*  numMfmaForLR:6, barrierMfmaIndex:121, LocalWritePerMfma:0.165 */
/*  mfmaIndex:96  */
v_mfma_f32_16x16x4_f32 v[0+0:3+0], v[vgprG2LA+28+0], v[vgprValuB_X6_I0+0+0+0], v[0:3]
/*  mfmaIndex:97  */
v_mfma_f32_16x16x4_f32 v[8+0:11+0], v[vgprG2LA+28+0], v[vgprValuB_X6_I0+1+0+0], v[8:11]
/*  mfmaIndex:98  */
/* sched write - iter 6 writesPerItem=1 */
s_waitcnt vmcnt(0)                                 // lgkmcnt=-1 vmcnt=0wait for global read before writing to local
_ds_store_b128 v[vgprLocalWriteAddrB], v[vgprG2LB+4:vgprG2LB+4+3] offset:1152 // lwoB_0_0_1_0 = (0*LSCB) + (1*LSPB)(*MT1J+PAD) = 1152
v_mfma_f32_16x16x4_f32 v[16+0:19+0], v[vgprG2LA+28+0], v[vgprValuB_X6_I0+2+0+0], v[16:19]
/*  mfmaIndex:99  */
v_mfma_f32_16x16x4_f32 v[24+0:27+0], v[vgprG2LA+28+0], v[vgprValuB_X6_I0+3+0+0], v[24:27]
/*  mfmaIndex:100  */
	;; [unrolled: 2-line block ×6, first 2 shown]
/* sched write - iter 6 writesPerItem=1 */
s_waitcnt vmcnt(0)                                 // lgkmcnt=-1 vmcnt=0wait for global read before writing to local
_ds_store_b128 v[vgprLocalWriteAddrB], v[vgprG2LB+8:vgprG2LB+8+3] offset:2304 // lwoB_0_0_2_0 = (0*LSCB) + (2*LSPB)(*MT1J+PAD) = 2304
v_mfma_f32_16x16x4_f32 v[60+0:63+0], v[vgprG2LA+29+0], v[vgprValuB_X6_I0+7+0+0], v[60:63]
/*  mfmaIndex:105  */
v_mfma_f32_16x16x4_f32 v[52+0:55+0], v[vgprG2LA+29+0], v[vgprValuB_X6_I0+6+0+0], v[52:55]
/*  mfmaIndex:106  */
v_mfma_f32_16x16x4_f32 v[44+0:47+0], v[vgprG2LA+29+0], v[vgprValuB_X6_I0+5+0+0], v[44:47]
/*  mfmaIndex:107  */
v_mfma_f32_16x16x4_f32 v[36+0:39+0], v[vgprG2LA+29+0], v[vgprValuB_X6_I0+4+0+0], v[36:39]
/*  mfmaIndex:108  */
v_mfma_f32_16x16x4_f32 v[28+0:31+0], v[vgprG2LA+29+0], v[vgprValuB_X6_I0+3+0+0], v[28:31]
/*  mfmaIndex:109  */
v_mfma_f32_16x16x4_f32 v[20+0:23+0], v[vgprG2LA+29+0], v[vgprValuB_X6_I0+2+0+0], v[20:23]
/*  mfmaIndex:110  */
/* sched write - iter 6 writesPerItem=1 */
s_waitcnt vmcnt(0)                                 // lgkmcnt=-1 vmcnt=0wait for global read before writing to local
_ds_store_b128 v[vgprLocalWriteAddrB], v[vgprG2LB+12:vgprG2LB+12+3] offset:3456 // lwoB_0_0_3_0 = (0*LSCB) + (3*LSPB)(*MT1J+PAD) = 3456
v_mfma_f32_16x16x4_f32 v[12+0:15+0], v[vgprG2LA+29+0], v[vgprValuB_X6_I0+1+0+0], v[12:15]
/*  mfmaIndex:111  */

/* local write swap offsets a */

/* local write swap offsets b */

/* local read swap offsets a */

/* local read swap offsets b */

/* local read init pointers a */

/* local read init pointers b */

/* localReadInitPointers */
v_mfma_f32_16x16x4_f32 v[4+0:7+0], v[vgprG2LA+29+0], v[vgprValuB_X6_I0+0+0+0], v[4:7]


/* iter 7 */

/*  grEndMfmaIndex:6, lwStartMfmaIndex:92, lwEndMfmaIndex:111  */
/*  numMfmaForLR:6, barrierMfmaIndex:121, LocalWritePerMfma:0.165 */
/*  mfmaIndex:112  */
v_mfma_f32_16x16x4_f32 v[0+0:3+0], v[vgprG2LA+30+0], v[vgprValuB_X7_I0+0+0+0], v[0:3]
/*  mfmaIndex:113  */
v_mfma_f32_16x16x4_f32 v[8+0:11+0], v[vgprG2LA+30+0], v[vgprValuB_X7_I0+1+0+0], v[8:11]
	;; [unrolled: 2-line block ×9, first 2 shown]
s_setprio 0                                        // store optimization
/*  mfmaIndex:121  */
s_waitcnt lgkmcnt(0)                               // lgkmcnt=0 vmcnt=-13wait for local write
// Skip force waitcnt0
s_barrier //
v_mfma_f32_16x16x4_f32 v[12+0:15+0], v[vgprG2LA+31+0], v[vgprValuB_X7_I0+1+0+0], v[12:15]
/*  mfmaIndex:122  */
s_setprio 3                                        // store optimization
_ds_load_b32 v[vgprValuB_X0_I0+0], v[vgprLocalReadAddrB] offset:0 // L -> Reg lro=0 swapByteOffset=0 ti=16 vIdx=0 rIdx=0 oIdx=0 buffer=0 iui=0
_ds_load_b32 v[vgprValuB_X0_I0+1], v[vgprLocalReadAddrB] offset:64 // L -> Reg lro=0 swapByteOffset=0 ti=16 vIdx=1 rIdx=0 oIdx=0 buffer=0 iui=0
v_mfma_f32_16x16x4_f32 v[20+0:23+0], v[vgprG2LA+31+0], v[vgprValuB_X7_I0+2+0+0], v[20:23]
/*  mfmaIndex:123  */
_ds_load_b32 v[vgprValuB_X0_I0+2], v[vgprLocalReadAddrB] offset:128 // L -> Reg lro=0 swapByteOffset=0 ti=16 vIdx=2 rIdx=0 oIdx=0 buffer=0 iui=0
_ds_load_b32 v[vgprValuB_X0_I0+3], v[vgprLocalReadAddrB] offset:192 // L -> Reg lro=0 swapByteOffset=0 ti=16 vIdx=3 rIdx=0 oIdx=0 buffer=0 iui=0
v_mfma_f32_16x16x4_f32 v[28+0:31+0], v[vgprG2LA+31+0], v[vgprValuB_X7_I0+3+0+0], v[28:31]
/*  mfmaIndex:124  */
	;; [unrolled: 4-line block ×4, first 2 shown]
v_mfma_f32_16x16x4_f32 v[52+0:55+0], v[vgprG2LA+31+0], v[vgprValuB_X7_I0+6+0+0], v[52:55]
/*  mfmaIndex:127  */
v_mfma_f32_16x16x4_f32 v[60+0:63+0], v[vgprG2LA+31+0], v[vgprValuB_X7_I0+7+0+0], v[60:63]
s_setprio 0                                        // store optimization

s_branch label_0018                                // Skip even code
label_0017: // EvenStartNoGlobalLoadLoopOrd 


/* iter 0 */

s_waitcnt vmcnt(34)                                // lgkmcnt=-1 vmcnt=34global read wait for DirectToVgpr

/*  grEndMfmaIndex:6, lwStartMfmaIndex:92, lwEndMfmaIndex:111  */
/*  numMfmaForLR:6, barrierMfmaIndex:121, LocalWritePerMfma:0.165 */
/*  mfmaIndex:0  */
s_waitcnt lgkmcnt(0)                               // lgkmcnt=0 vmcnt=-1wait for prior local read local write old=0, new=0 newLW=0 newLR=0
v_mfma_f32_16x16x4_f32 v[0+0:3+0], v[vgprG2LA+0+0], v[vgprValuB_X0_I0+0+0+0], v[0:3]
/*  mfmaIndex:1  */
_ds_load_b32 v[vgprValuB_X1_I0+0], v[vgprLocalReadAddrB] offset:2304 // L -> Reg lro=576 swapByteOffset=0 ti=16 vIdx=0 rIdx=0 oIdx=0 buffer=1 iui=0
_ds_load_b32 v[vgprValuB_X1_I0+1], v[vgprLocalReadAddrB] offset:2368 // L -> Reg lro=576 swapByteOffset=0 ti=16 vIdx=1 rIdx=0 oIdx=0 buffer=1 iui=0

/* global read inc B loopL */
s_cmp_eq_u32 s[sgprLoopCounterL], s[sgprStaggerUIter] // Is this the wrapIter?
s_cselect_b32 s54, s[sgprWrapUB+0], s[sgprGlobalReadIncsB+0] // incLower <- ?
s_cselect_b32 s55, s[sgprWrapUB+1], 0              // incUpper <- ?
v_mfma_f32_16x16x4_f32 v[8+0:11+0], v[vgprG2LA+0+0], v[vgprValuB_X0_I0+1+0+0], v[8:11]
/*  mfmaIndex:2  */
_ds_load_b32 v[vgprValuB_X1_I0+2], v[vgprLocalReadAddrB] offset:2432 // L -> Reg lro=576 swapByteOffset=0 ti=16 vIdx=2 rIdx=0 oIdx=0 buffer=1 iui=0
_ds_load_b32 v[vgprValuB_X1_I0+3], v[vgprLocalReadAddrB] offset:2496 // L -> Reg lro=576 swapByteOffset=0 ti=16 vIdx=3 rIdx=0 oIdx=0 buffer=1 iui=0
s_add_u32 s[sgprSrdB+0], s[sgprSrdB+0], s54        // gra SRD += inc(lower)
s_addc_u32  s[sgprSrdB+1], s[sgprSrdB+1], s55      // gra SRD += inc(upper)
s_sub_u32 s[sgprShadowLimitB+0], s[sgprShadowLimitB+0], s54 // limit -= inc)
v_mfma_f32_16x16x4_f32 v[16+0:19+0], v[vgprG2LA+0+0], v[vgprValuB_X0_I0+2+0+0], v[16:19]
/*  mfmaIndex:3  */
_ds_load_b32 v[vgprValuB_X1_I0+4], v[vgprLocalReadAddrB] offset:2560 // L -> Reg lro=576 swapByteOffset=0 ti=16 vIdx=4 rIdx=0 oIdx=0 buffer=1 iui=0
_ds_load_b32 v[vgprValuB_X1_I0+5], v[vgprLocalReadAddrB] offset:2624 // L -> Reg lro=576 swapByteOffset=0 ti=16 vIdx=5 rIdx=0 oIdx=0 buffer=1 iui=0
s_subb_u32 s[sgprShadowLimitB+1], s[sgprShadowLimitB+1], s55 // limit -= inc)
s_cmp_eq_u32 s[sgprShadowLimitB+1], 0              // are we within 2^32?
s_cselect_b32 s[sgprSrdB+2], s[sgprShadowLimitB+0], BufferLimitB // Move shadow to real if we are within 2^32
v_mfma_f32_16x16x4_f32 v[24+0:27+0], v[vgprG2LA+0+0], v[vgprValuB_X0_I0+3+0+0], v[24:27]
/*  mfmaIndex:4  */
_ds_load_b32 v[vgprValuB_X1_I0+6], v[vgprLocalReadAddrB] offset:2688 // L -> Reg lro=576 swapByteOffset=0 ti=16 vIdx=6 rIdx=0 oIdx=0 buffer=1 iui=0
_ds_load_b32 v[vgprValuB_X1_I0+7], v[vgprLocalReadAddrB] offset:2752 // L -> Reg lro=576 swapByteOffset=0 ti=16 vIdx=7 rIdx=0 oIdx=0 buffer=1 iui=0
/* localReadsVacancy: latencyLeft 1 */

/* global read inc A loopL */
s_cmp_eq_u32 s[sgprLoopCounterL], s[sgprStaggerUIter] // Is this the wrapIter?
s_cselect_b32 s54, s[sgprWrapUA+0], s[sgprGlobalReadIncsA+0] // incLower <- ?
s_cselect_b32 s55, s[sgprWrapUA+1], 0              // incUpper <- ?
v_mfma_f32_16x16x4_f32 v[32+0:35+0], v[vgprG2LA+0+0], v[vgprValuB_X0_I0+4+0+0], v[32:35]
/*  mfmaIndex:5  */
/* localReadsVacancy: latencyLeft 5 */
_ds_load_b32 v[vgprValuB_X2_I0+0], v[vgprLocalReadAddrB] offset:4608 // L -> Reg lro=1152 swapByteOffset=0 ti=16 vIdx=0 rIdx=0 oIdx=0 buffer=2 iui=0
_ds_load_b32 v[vgprValuB_X2_I0+1], v[vgprLocalReadAddrB] offset:4672 // L -> Reg lro=1152 swapByteOffset=0 ti=16 vIdx=1 rIdx=0 oIdx=0 buffer=2 iui=0
s_add_u32 s[sgprSrdA+0], s[sgprSrdA+0], s54        // gra SRD += inc(lower)
s_addc_u32  s[sgprSrdA+1], s[sgprSrdA+1], s55      // gra SRD += inc(upper)
s_sub_u32 s[sgprShadowLimitA+0], s[sgprShadowLimitA+0], s54 // limit -= inc)
v_mfma_f32_16x16x4_f32 v[40+0:43+0], v[vgprG2LA+0+0], v[vgprValuB_X0_I0+5+0+0], v[40:43]
/*  mfmaIndex:6  */
/* localReadsVacancy: latencyLeft 5 */
_ds_load_b32 v[vgprValuB_X2_I0+2], v[vgprLocalReadAddrB] offset:4736 // L -> Reg lro=1152 swapByteOffset=0 ti=16 vIdx=2 rIdx=0 oIdx=0 buffer=2 iui=0
_ds_load_b32 v[vgprValuB_X2_I0+3], v[vgprLocalReadAddrB] offset:4800 // L -> Reg lro=1152 swapByteOffset=0 ti=16 vIdx=3 rIdx=0 oIdx=0 buffer=2 iui=0
s_subb_u32 s[sgprShadowLimitA+1], s[sgprShadowLimitA+1], s55 // limit -= inc)
s_cmp_eq_u32 s[sgprShadowLimitA+1], 0              // are we within 2^32?
s_cselect_b32 s[sgprSrdA+2], s[sgprShadowLimitA+0], BufferLimitA // Move shadow to real if we are within 2^32
v_mfma_f32_16x16x4_f32 v[48+0:51+0], v[vgprG2LA+0+0], v[vgprValuB_X0_I0+6+0+0], v[48:51]
/*  mfmaIndex:7  */
/* localReadsVacancy: latencyLeft 5 */
_ds_load_b32 v[vgprValuB_X2_I0+4], v[vgprLocalReadAddrB] offset:4864 // L -> Reg lro=1152 swapByteOffset=0 ti=16 vIdx=4 rIdx=0 oIdx=0 buffer=2 iui=0
_ds_load_b32 v[vgprValuB_X2_I0+5], v[vgprLocalReadAddrB] offset:4928 // L -> Reg lro=1152 swapByteOffset=0 ti=16 vIdx=5 rIdx=0 oIdx=0 buffer=2 iui=0
v_mfma_f32_16x16x4_f32 v[56+0:59+0], v[vgprG2LA+0+0], v[vgprValuB_X0_I0+7+0+0], v[56:59]
/*  mfmaIndex:8  */
/* localReadsVacancy: latencyLeft 5 */
_ds_load_b32 v[vgprValuB_X2_I0+6], v[vgprLocalReadAddrB] offset:4992 // L -> Reg lro=1152 swapByteOffset=0 ti=16 vIdx=6 rIdx=0 oIdx=0 buffer=2 iui=0
_ds_load_b32 v[vgprValuB_X2_I0+7], v[vgprLocalReadAddrB] offset:5056 // L -> Reg lro=1152 swapByteOffset=0 ti=16 vIdx=7 rIdx=0 oIdx=0 buffer=2 iui=0
v_mfma_f32_16x16x4_f32 v[60+0:63+0], v[vgprG2LA+1+0], v[vgprValuB_X0_I0+7+0+0], v[60:63]
/*  mfmaIndex:9  */
/* localReadsVacancy: latencyLeft 5 */
_ds_load_b32 v[vgprValuB_X3_I0+0], v[vgprLocalReadAddrB] offset:6912 // L -> Reg lro=1728 swapByteOffset=0 ti=16 vIdx=0 rIdx=0 oIdx=0 buffer=3 iui=0
_ds_load_b32 v[vgprValuB_X3_I0+1], v[vgprLocalReadAddrB] offset:6976 // L -> Reg lro=1728 swapByteOffset=0 ti=16 vIdx=1 rIdx=0 oIdx=0 buffer=3 iui=0
v_mfma_f32_16x16x4_f32 v[52+0:55+0], v[vgprG2LA+1+0], v[vgprValuB_X0_I0+6+0+0], v[52:55]
/*  mfmaIndex:10  */
/* localReadsVacancy: latencyLeft 5 */
_ds_load_b32 v[vgprValuB_X3_I0+2], v[vgprLocalReadAddrB] offset:7040 // L -> Reg lro=1728 swapByteOffset=0 ti=16 vIdx=2 rIdx=0 oIdx=0 buffer=3 iui=0
_ds_load_b32 v[vgprValuB_X3_I0+3], v[vgprLocalReadAddrB] offset:7104 // L -> Reg lro=1728 swapByteOffset=0 ti=16 vIdx=3 rIdx=0 oIdx=0 buffer=3 iui=0
	;; [unrolled: 5-line block ×4, first 2 shown]
v_mfma_f32_16x16x4_f32 v[28+0:31+0], v[vgprG2LA+1+0], v[vgprValuB_X0_I0+3+0+0], v[28:31]
/*  mfmaIndex:13  */
/* localReadsVacancy: latencyLeft 5 */
_ds_load_b32 v[vgprValuB_X4_I0+0], v[vgprLocalReadAddrB] offset:9216 // L -> Reg lro=2304 swapByteOffset=0 ti=16 vIdx=0 rIdx=0 oIdx=0 buffer=4 iui=0
_ds_load_b32 v[vgprValuB_X4_I0+1], v[vgprLocalReadAddrB] offset:9280 // L -> Reg lro=2304 swapByteOffset=0 ti=16 vIdx=1 rIdx=0 oIdx=0 buffer=4 iui=0
v_mfma_f32_16x16x4_f32 v[20+0:23+0], v[vgprG2LA+1+0], v[vgprValuB_X0_I0+2+0+0], v[20:23]
/*  mfmaIndex:14  */
/* localReadsVacancy: latencyLeft 5 */
_ds_load_b32 v[vgprValuB_X4_I0+2], v[vgprLocalReadAddrB] offset:9344 // L -> Reg lro=2304 swapByteOffset=0 ti=16 vIdx=2 rIdx=0 oIdx=0 buffer=4 iui=0
_ds_load_b32 v[vgprValuB_X4_I0+3], v[vgprLocalReadAddrB] offset:9408 // L -> Reg lro=2304 swapByteOffset=0 ti=16 vIdx=3 rIdx=0 oIdx=0 buffer=4 iui=0
	;; [unrolled: 5-line block ×3, first 2 shown]
v_mfma_f32_16x16x4_f32 v[4+0:7+0], v[vgprG2LA+1+0], v[vgprValuB_X0_I0+0+0+0], v[4:7]
/* numPrefetchIter=0 */
/* dataAtIterA=-1 numReadsIterA=1 skipReadsIterA=1 readsPerIterA=2 */
/* dataAtIterB=-1 numReadsIterB=1 skipReadsIterB=1 readsPerIterB=8 */


/* iter 1 */

s_waitcnt vmcnt(32)                                // lgkmcnt=-1 vmcnt=32global read wait for DirectToVgpr

/*  grEndMfmaIndex:6, lwStartMfmaIndex:92, lwEndMfmaIndex:111  */
/*  numMfmaForLR:6, barrierMfmaIndex:121, LocalWritePerMfma:0.165 */
/*  mfmaIndex:16  */
/* localReadsVacancy: latencyLeft 5 */
_ds_load_b32 v[vgprValuB_X4_I0+6], v[vgprLocalReadAddrB] offset:9600 // L -> Reg lro=2304 swapByteOffset=0 ti=16 vIdx=6 rIdx=0 oIdx=0 buffer=4 iui=0
_ds_load_b32 v[vgprValuB_X4_I0+7], v[vgprLocalReadAddrB] offset:9664 // L -> Reg lro=2304 swapByteOffset=0 ti=16 vIdx=7 rIdx=0 oIdx=0 buffer=4 iui=0
s_waitcnt lgkmcnt(15)                              // lgkmcnt=0 vmcnt=-1wait for prior local read local write old=8, new=8 newLW=0 newLR=0
v_mfma_f32_16x16x4_f32 v[0+0:3+0], v[vgprG2LA+2+0], v[vgprValuB_X1_I0+0+0+0], v[0:3]
/*  mfmaIndex:17  */
/* localReadsVacancy: latencyLeft 5 */
_ds_load_b32 v[vgprValuB_X5_I0+0], v[vgprLocalReadAddrB] offset:11520 // L -> Reg lro=2880 swapByteOffset=0 ti=16 vIdx=0 rIdx=0 oIdx=0 buffer=5 iui=0
_ds_load_b32 v[vgprValuB_X5_I0+1], v[vgprLocalReadAddrB] offset:11584 // L -> Reg lro=2880 swapByteOffset=0 ti=16 vIdx=1 rIdx=0 oIdx=0 buffer=5 iui=0
v_mfma_f32_16x16x4_f32 v[8+0:11+0], v[vgprG2LA+2+0], v[vgprValuB_X1_I0+1+0+0], v[8:11]
/*  mfmaIndex:18  */
/* localReadsVacancy: latencyLeft 5 */
_ds_load_b32 v[vgprValuB_X5_I0+2], v[vgprLocalReadAddrB] offset:11648 // L -> Reg lro=2880 swapByteOffset=0 ti=16 vIdx=2 rIdx=0 oIdx=0 buffer=5 iui=0
_ds_load_b32 v[vgprValuB_X5_I0+3], v[vgprLocalReadAddrB] offset:11712 // L -> Reg lro=2880 swapByteOffset=0 ti=16 vIdx=3 rIdx=0 oIdx=0 buffer=5 iui=0
	;; [unrolled: 5-line block ×4, first 2 shown]
v_mfma_f32_16x16x4_f32 v[32+0:35+0], v[vgprG2LA+2+0], v[vgprValuB_X1_I0+4+0+0], v[32:35]
/*  mfmaIndex:21  */
/* localReadsVacancy: latencyLeft 5 */
_ds_load_b32 v[vgprValuB_X6_I0+0], v[vgprLocalReadAddrB] offset:13824 // L -> Reg lro=3456 swapByteOffset=0 ti=16 vIdx=0 rIdx=0 oIdx=0 buffer=6 iui=0
_ds_load_b32 v[vgprValuB_X6_I0+1], v[vgprLocalReadAddrB] offset:13888 // L -> Reg lro=3456 swapByteOffset=0 ti=16 vIdx=1 rIdx=0 oIdx=0 buffer=6 iui=0
v_mfma_f32_16x16x4_f32 v[40+0:43+0], v[vgprG2LA+2+0], v[vgprValuB_X1_I0+5+0+0], v[40:43]
/*  mfmaIndex:22  */
/* localReadsVacancy: latencyLeft 5 */
_ds_load_b32 v[vgprValuB_X6_I0+2], v[vgprLocalReadAddrB] offset:13952 // L -> Reg lro=3456 swapByteOffset=0 ti=16 vIdx=2 rIdx=0 oIdx=0 buffer=6 iui=0
_ds_load_b32 v[vgprValuB_X6_I0+3], v[vgprLocalReadAddrB] offset:14016 // L -> Reg lro=3456 swapByteOffset=0 ti=16 vIdx=3 rIdx=0 oIdx=0 buffer=6 iui=0
	;; [unrolled: 5-line block ×4, first 2 shown]
v_mfma_f32_16x16x4_f32 v[60+0:63+0], v[vgprG2LA+3+0], v[vgprValuB_X1_I0+7+0+0], v[60:63]
/*  mfmaIndex:25  */
/* localReadsVacancy: latencyLeft 5 */
_ds_load_b32 v[vgprValuB_X7_I0+0], v[vgprLocalReadAddrB] offset:16128 // L -> Reg lro=4032 swapByteOffset=0 ti=16 vIdx=0 rIdx=0 oIdx=0 buffer=7 iui=0
_ds_load_b32 v[vgprValuB_X7_I0+1], v[vgprLocalReadAddrB] offset:16192 // L -> Reg lro=4032 swapByteOffset=0 ti=16 vIdx=1 rIdx=0 oIdx=0 buffer=7 iui=0
v_mfma_f32_16x16x4_f32 v[52+0:55+0], v[vgprG2LA+3+0], v[vgprValuB_X1_I0+6+0+0], v[52:55]
/*  mfmaIndex:26  */
/* localReadsVacancy: latencyLeft 5 */
_ds_load_b32 v[vgprValuB_X7_I0+2], v[vgprLocalReadAddrB] offset:16256 // L -> Reg lro=4032 swapByteOffset=0 ti=16 vIdx=2 rIdx=0 oIdx=0 buffer=7 iui=0
_ds_load_b32 v[vgprValuB_X7_I0+3], v[vgprLocalReadAddrB] offset:16320 // L -> Reg lro=4032 swapByteOffset=0 ti=16 vIdx=3 rIdx=0 oIdx=0 buffer=7 iui=0
	;; [unrolled: 5-line block ×4, first 2 shown]
v_mfma_f32_16x16x4_f32 v[28+0:31+0], v[vgprG2LA+3+0], v[vgprValuB_X1_I0+3+0+0], v[28:31]
/*  mfmaIndex:29  */
/* localReadsVacancy: latencyLeft 5 */
v_mfma_f32_16x16x4_f32 v[20+0:23+0], v[vgprG2LA+3+0], v[vgprValuB_X1_I0+2+0+0], v[20:23]
/*  mfmaIndex:30  */
/* localReadsVacancy: latencyLeft 5 */
	;; [unrolled: 3-line block ×3, first 2 shown]
v_mfma_f32_16x16x4_f32 v[4+0:7+0], v[vgprG2LA+3+0], v[vgprValuB_X1_I0+0+0+0], v[4:7]
/* numPrefetchIter=0 */
/* dataAtIterA=0 numReadsIterA=2 skipReadsIterA=1 readsPerIterA=2 */
/* dataAtIterB=0 numReadsIterB=2 skipReadsIterB=1 readsPerIterB=8 */


/* iter 2 */

s_waitcnt vmcnt(30)                                // lgkmcnt=-1 vmcnt=30global read wait for DirectToVgpr

/*  grEndMfmaIndex:6, lwStartMfmaIndex:92, lwEndMfmaIndex:111  */
/*  numMfmaForLR:6, barrierMfmaIndex:121, LocalWritePerMfma:0.165 */
/*  mfmaIndex:32  */
/* localReadsVacancy: latencyLeft 5 */
s_waitcnt lgkmcnt(15)                              // lgkmcnt=0 vmcnt=-1wait for prior local read local write old=0, new=0 newLW=0 newLR=0
v_mfma_f32_16x16x4_f32 v[0+0:3+0], v[vgprG2LA+4+0], v[vgprValuB_X2_I0+0+0+0], v[0:3]
/*  mfmaIndex:33  */
/* localReadsVacancy: latencyLeft 5 */
v_mfma_f32_16x16x4_f32 v[8+0:11+0], v[vgprG2LA+4+0], v[vgprValuB_X2_I0+1+0+0], v[8:11]
/*  mfmaIndex:34  */
/* localReadsVacancy: latencyLeft 5 */
	;; [unrolled: 3-line block ×15, first 2 shown]
v_mfma_f32_16x16x4_f32 v[4+0:7+0], v[vgprG2LA+5+0], v[vgprValuB_X2_I0+0+0+0], v[4:7]
/* numPrefetchIter=0 */
/* dataAtIterA=1 numReadsIterA=3 skipReadsIterA=1 readsPerIterA=2 */
/* dataAtIterB=1 numReadsIterB=3 skipReadsIterB=1 readsPerIterB=8 */


/* iter 3 */

s_waitcnt vmcnt(28)                                // lgkmcnt=-1 vmcnt=28global read wait for DirectToVgpr

/*  grEndMfmaIndex:6, lwStartMfmaIndex:92, lwEndMfmaIndex:111  */
/*  numMfmaForLR:6, barrierMfmaIndex:121, LocalWritePerMfma:0.165 */
/*  mfmaIndex:48  */
/* localReadsVacancy: latencyLeft 5 */
s_waitcnt lgkmcnt(15)                              // lgkmcnt=0 vmcnt=-1wait for prior local read local write old=2, new=2 newLW=0 newLR=0
v_mfma_f32_16x16x4_f32 v[0+0:3+0], v[vgprG2LA+6+0], v[vgprValuB_X3_I0+0+0+0], v[0:3]
/*  mfmaIndex:49  */
/* localReadsVacancy: latencyLeft 5 */
v_mfma_f32_16x16x4_f32 v[8+0:11+0], v[vgprG2LA+6+0], v[vgprValuB_X3_I0+1+0+0], v[8:11]
/*  mfmaIndex:50  */
/* localReadsVacancy: latencyLeft 5 */
	;; [unrolled: 3-line block ×15, first 2 shown]
v_mfma_f32_16x16x4_f32 v[4+0:7+0], v[vgprG2LA+7+0], v[vgprValuB_X3_I0+0+0+0], v[4:7]
/* numPrefetchIter=0 */
/* dataAtIterA=2 numReadsIterA=4 skipReadsIterA=1 readsPerIterA=2 */
/* dataAtIterB=2 numReadsIterB=4 skipReadsIterB=1 readsPerIterB=8 */


/* iter 4 */

s_waitcnt vmcnt(26)                                // lgkmcnt=-1 vmcnt=26global read wait for DirectToVgpr

/*  grEndMfmaIndex:6, lwStartMfmaIndex:92, lwEndMfmaIndex:111  */
/*  numMfmaForLR:6, barrierMfmaIndex:121, LocalWritePerMfma:0.165 */
/*  mfmaIndex:64  */
/* localReadsVacancy: latencyLeft 5 */
s_waitcnt lgkmcnt(15)                              // lgkmcnt=0 vmcnt=-1wait for prior local read local write old=8, new=8 newLW=0 newLR=0
v_mfma_f32_16x16x4_f32 v[0+0:3+0], v[vgprG2LA+8+0], v[vgprValuB_X4_I0+0+0+0], v[0:3]
/*  mfmaIndex:65  */
/* localReadsVacancy: latencyLeft 5 */
v_mfma_f32_16x16x4_f32 v[8+0:11+0], v[vgprG2LA+8+0], v[vgprValuB_X4_I0+1+0+0], v[8:11]
/*  mfmaIndex:66  */
/* localReadsVacancy: latencyLeft 5 */
	;; [unrolled: 3-line block ×15, first 2 shown]
v_mfma_f32_16x16x4_f32 v[4+0:7+0], v[vgprG2LA+9+0], v[vgprValuB_X4_I0+0+0+0], v[4:7]
/* numPrefetchIter=0 */
/* dataAtIterA=3 numReadsIterA=5 skipReadsIterA=1 readsPerIterA=2 */
/* dataAtIterB=3 numReadsIterB=5 skipReadsIterB=1 readsPerIterB=8 */


/* iter 5 */

s_waitcnt vmcnt(24)                                // lgkmcnt=-1 vmcnt=24global read wait for DirectToVgpr

/*  grEndMfmaIndex:6, lwStartMfmaIndex:92, lwEndMfmaIndex:111  */
/*  numMfmaForLR:6, barrierMfmaIndex:121, LocalWritePerMfma:0.165 */
/*  mfmaIndex:80  */
/* localReadsVacancy: latencyLeft 5 */
s_waitcnt lgkmcnt(15)                              // lgkmcnt=0 vmcnt=-1wait for prior local read local write old=8, new=8 newLW=0 newLR=0
v_mfma_f32_16x16x4_f32 v[0+0:3+0], v[vgprG2LA+10+0], v[vgprValuB_X5_I0+0+0+0], v[0:3]
/*  mfmaIndex:81  */
/* localReadsVacancy: latencyLeft 5 */
v_mfma_f32_16x16x4_f32 v[8+0:11+0], v[vgprG2LA+10+0], v[vgprValuB_X5_I0+1+0+0], v[8:11]
/*  mfmaIndex:82  */
/* localReadsVacancy: latencyLeft 5 */
	;; [unrolled: 3-line block ×11, first 2 shown]
/* 1 LDS buffer: read-sync-write */
s_waitcnt lgkmcnt(0)                               // 
s_barrier                                          // 
v_mfma_f32_16x16x4_f32 v[36+0:39+0], v[vgprG2LA+11+0], v[vgprValuB_X5_I0+4+0+0], v[36:39]
/*  mfmaIndex:92  */
/* localReadsVacancy: latencyLeft 1 */
s_setprio 3                                        // store optimization
/* sched write - iter 5 writesPerItem=1 */
s_waitcnt vmcnt(0)                                 // lgkmcnt=-1 vmcnt=0wait for global read before writing to local
_ds_store_b128 v[vgprLocalWriteAddrB], v[vgprG2LB+0:vgprG2LB+0+3] offset:0 // lwoB_0_0_0_0 = (0*LSCB) + (0*LSPB)(*MT1J+PAD) = 0
v_mfma_f32_16x16x4_f32 v[28+0:31+0], v[vgprG2LA+11+0], v[vgprValuB_X5_I0+3+0+0], v[28:31]
/*  mfmaIndex:93  */
v_mfma_f32_16x16x4_f32 v[20+0:23+0], v[vgprG2LA+11+0], v[vgprValuB_X5_I0+2+0+0], v[20:23]
/*  mfmaIndex:94  */
	;; [unrolled: 2-line block ×3, first 2 shown]
v_mfma_f32_16x16x4_f32 v[4+0:7+0], v[vgprG2LA+11+0], v[vgprValuB_X5_I0+0+0+0], v[4:7]
/* numPrefetchIter=0 */
/* dataAtIterA=4 numReadsIterA=6 skipReadsIterA=1 readsPerIterA=2 */
/* dataAtIterB=4 numReadsIterB=6 skipReadsIterB=1 readsPerIterB=8 */


/* iter 6 (reset local read pointers iteration)  (swap and reset local write pointers iteration)  (swap local read pointers iteration)  */

/*  grEndMfmaIndex:6, lwStartMfmaIndex:92, lwEndMfmaIndex:111  */
/*  numMfmaForLR:6, barrierMfmaIndex:121, LocalWritePerMfma:0.165 */
/*  mfmaIndex:96  */
v_mfma_f32_16x16x4_f32 v[0+0:3+0], v[vgprG2LA+12+0], v[vgprValuB_X6_I0+0+0+0], v[0:3]
/*  mfmaIndex:97  */
v_mfma_f32_16x16x4_f32 v[8+0:11+0], v[vgprG2LA+12+0], v[vgprValuB_X6_I0+1+0+0], v[8:11]
/*  mfmaIndex:98  */
/* sched write - iter 6 writesPerItem=1 */
s_waitcnt vmcnt(0)                                 // lgkmcnt=-1 vmcnt=0wait for global read before writing to local
_ds_store_b128 v[vgprLocalWriteAddrB], v[vgprG2LB+4:vgprG2LB+4+3] offset:1152 // lwoB_0_0_1_0 = (0*LSCB) + (1*LSPB)(*MT1J+PAD) = 1152
v_mfma_f32_16x16x4_f32 v[16+0:19+0], v[vgprG2LA+12+0], v[vgprValuB_X6_I0+2+0+0], v[16:19]
/*  mfmaIndex:99  */
v_mfma_f32_16x16x4_f32 v[24+0:27+0], v[vgprG2LA+12+0], v[vgprValuB_X6_I0+3+0+0], v[24:27]
/*  mfmaIndex:100  */
	;; [unrolled: 2-line block ×6, first 2 shown]
/* sched write - iter 6 writesPerItem=1 */
s_waitcnt vmcnt(0)                                 // lgkmcnt=-1 vmcnt=0wait for global read before writing to local
_ds_store_b128 v[vgprLocalWriteAddrB], v[vgprG2LB+8:vgprG2LB+8+3] offset:2304 // lwoB_0_0_2_0 = (0*LSCB) + (2*LSPB)(*MT1J+PAD) = 2304
v_mfma_f32_16x16x4_f32 v[60+0:63+0], v[vgprG2LA+13+0], v[vgprValuB_X6_I0+7+0+0], v[60:63]
/*  mfmaIndex:105  */
v_mfma_f32_16x16x4_f32 v[52+0:55+0], v[vgprG2LA+13+0], v[vgprValuB_X6_I0+6+0+0], v[52:55]
/*  mfmaIndex:106  */
	;; [unrolled: 2-line block ×6, first 2 shown]
/* sched write - iter 6 writesPerItem=1 */
s_waitcnt vmcnt(0)                                 // lgkmcnt=-1 vmcnt=0wait for global read before writing to local
_ds_store_b128 v[vgprLocalWriteAddrB], v[vgprG2LB+12:vgprG2LB+12+3] offset:3456 // lwoB_0_0_3_0 = (0*LSCB) + (3*LSPB)(*MT1J+PAD) = 3456
v_mfma_f32_16x16x4_f32 v[12+0:15+0], v[vgprG2LA+13+0], v[vgprValuB_X6_I0+1+0+0], v[12:15]
/*  mfmaIndex:111  */

/* local write swap offsets a */

/* local write swap offsets b */

/* local read swap offsets a */

/* local read swap offsets b */

/* local read init pointers a */

/* local read init pointers b */

/* localReadInitPointers */
v_mfma_f32_16x16x4_f32 v[4+0:7+0], v[vgprG2LA+13+0], v[vgprValuB_X6_I0+0+0+0], v[4:7]


/* iter 7 */

/*  grEndMfmaIndex:6, lwStartMfmaIndex:92, lwEndMfmaIndex:111  */
/*  numMfmaForLR:6, barrierMfmaIndex:121, LocalWritePerMfma:0.165 */
/*  mfmaIndex:112  */
v_mfma_f32_16x16x4_f32 v[0+0:3+0], v[vgprG2LA+14+0], v[vgprValuB_X7_I0+0+0+0], v[0:3]
/*  mfmaIndex:113  */
v_mfma_f32_16x16x4_f32 v[8+0:11+0], v[vgprG2LA+14+0], v[vgprValuB_X7_I0+1+0+0], v[8:11]
	;; [unrolled: 2-line block ×9, first 2 shown]
s_setprio 0                                        // store optimization
/*  mfmaIndex:121  */
s_waitcnt lgkmcnt(0)                               // lgkmcnt=0 vmcnt=-13wait for local write
// Skip force waitcnt0
s_barrier //
v_mfma_f32_16x16x4_f32 v[12+0:15+0], v[vgprG2LA+15+0], v[vgprValuB_X7_I0+1+0+0], v[12:15]
/*  mfmaIndex:122  */
s_setprio 3                                        // store optimization
_ds_load_b32 v[vgprValuB_X0_I0+0], v[vgprLocalReadAddrB] offset:0 // L -> Reg lro=0 swapByteOffset=0 ti=16 vIdx=0 rIdx=0 oIdx=0 buffer=0 iui=0
_ds_load_b32 v[vgprValuB_X0_I0+1], v[vgprLocalReadAddrB] offset:64 // L -> Reg lro=0 swapByteOffset=0 ti=16 vIdx=1 rIdx=0 oIdx=0 buffer=0 iui=0
v_mfma_f32_16x16x4_f32 v[20+0:23+0], v[vgprG2LA+15+0], v[vgprValuB_X7_I0+2+0+0], v[20:23]
/*  mfmaIndex:123  */
_ds_load_b32 v[vgprValuB_X0_I0+2], v[vgprLocalReadAddrB] offset:128 // L -> Reg lro=0 swapByteOffset=0 ti=16 vIdx=2 rIdx=0 oIdx=0 buffer=0 iui=0
_ds_load_b32 v[vgprValuB_X0_I0+3], v[vgprLocalReadAddrB] offset:192 // L -> Reg lro=0 swapByteOffset=0 ti=16 vIdx=3 rIdx=0 oIdx=0 buffer=0 iui=0
v_mfma_f32_16x16x4_f32 v[28+0:31+0], v[vgprG2LA+15+0], v[vgprValuB_X7_I0+3+0+0], v[28:31]
/*  mfmaIndex:124  */
	;; [unrolled: 4-line block ×4, first 2 shown]
v_mfma_f32_16x16x4_f32 v[52+0:55+0], v[vgprG2LA+15+0], v[vgprValuB_X7_I0+6+0+0], v[52:55]
/*  mfmaIndex:127  */
v_mfma_f32_16x16x4_f32 v[60+0:63+0], v[vgprG2LA+15+0], v[vgprValuB_X7_I0+7+0+0], v[60:63]
s_setprio 0                                        // store optimization

label_0018: // EvenEndNoGlobalLoadLoopOrd 

label_0014:


/******************************************/
/* Opt. NoLoadLoop Without PAP - Begin                                      */
/******************************************/

s_cmpk_eq_u32 s[sgprBeta], 0x0                     // Beta == 0
s_cbranch_scc0 OptNLL_End_19                       // Branch if Beta is not zero

s_cmp_eq_u32 s[sgprAlpha], 1.0                     // Alpha == 1.0 ?
s_cbranch_scc0 OptNLL_End_19                       // branch if alpha != 1

s_and_b32 s54, 127, s[sgprSizeI]                   // s54 = s[sgprSizeI] % 128
s_add_u32 s55, -0x1, s[sgprNumWorkGroups0]         // 
s_cmp_ge_u32 s[sgprWorkGroup0], s55                // wg0 >= nwg0-1 ?
s_cselect_b32 s54, s54, 0                          // set rMT0
s_cmpk_gt_u32 s54, 0x0                             // rMT0 > 0
s_cbranch_scc1 OptNLL_End_19                       // jump if edges required
s_and_b32 s54, 127, s[sgprSizeJ]                   // s54 = s[sgprSizeJ] % 128
s_add_u32 s55, -0x1, s[sgprNumWorkGroups1]         // 
s_cmp_ge_u32 s[sgprWorkGroup1], s55                // wg1 >= nwg1-1
s_cselect_b32 s54, s54, 0                          // set rMT1
s_cmpk_gt_u32 s54, 0x0                             // rMT1 > 0
s_cbranch_scc1 OptNLL_End_19                       // jump if edges required

s_and_b32 s55, 31, s[sgprSizesSum+0]               // s55 = s[sgprSizesSum+0] % 32
s_cmp_eq_u32 s55, 0x0                              // numIterL == 0
s_cbranch_scc0 OptNLL_End_19                       // skip if tail loop required

s_and_b32 s53, s[sgprOrigLoopCounter], 1           // test if OrigLoopCounter is Odd ?
s_cbranch_scc0 label_0020                          // Skip odd code if OrigLoopCounter is Even


	;; [unrolled: 1-line block ×3, first 2 shown]
/* iter 0 (last unrolled loop) */

s_waitcnt vmcnt(14)                                // lgkmcnt=-1 vmcnt=14global read wait for DirectToVgpr

/*  grEndMfmaIndex:0, lwStartMfmaIndex:111, lwEndMfmaIndex:111  */
/*  numMfmaForLR:6, barrierMfmaIndex:121, LocalWritePerMfma:0.165 */
/*  mfmaIndex:0  */
s_waitcnt lgkmcnt(0)                               // lgkmcnt=0 vmcnt=-1wait for prior local read local write old=0, new=0 newLW=0 newLR=0
v_mfma_f32_16x16x4_f32 v[0+0:3+0], v[vgprG2LA+0+0], v[vgprValuB_X0_I0+0+0+0], v[0:3]
/*  mfmaIndex:1  */
_ds_load_b32 v[vgprValuB_X1_I0+0], v[vgprLocalReadAddrB] offset:2304 // L -> Reg lro=576 swapByteOffset=0 ti=16 vIdx=0 rIdx=0 oIdx=0 buffer=1 iui=0
_ds_load_b32 v[vgprValuB_X1_I0+1], v[vgprLocalReadAddrB] offset:2368 // L -> Reg lro=576 swapByteOffset=0 ti=16 vIdx=1 rIdx=0 oIdx=0 buffer=1 iui=0
v_mfma_f32_16x16x4_f32 v[8+0:11+0], v[vgprG2LA+0+0], v[vgprValuB_X0_I0+1+0+0], v[8:11]
/*  mfmaIndex:2  */
_ds_load_b32 v[vgprValuB_X1_I0+2], v[vgprLocalReadAddrB] offset:2432 // L -> Reg lro=576 swapByteOffset=0 ti=16 vIdx=2 rIdx=0 oIdx=0 buffer=1 iui=0
_ds_load_b32 v[vgprValuB_X1_I0+3], v[vgprLocalReadAddrB] offset:2496 // L -> Reg lro=576 swapByteOffset=0 ti=16 vIdx=3 rIdx=0 oIdx=0 buffer=1 iui=0
	;; [unrolled: 4-line block ×4, first 2 shown]
/* localReadsVacancy: latencyLeft 1 */
v_mfma_f32_16x16x4_f32 v[32+0:35+0], v[vgprG2LA+0+0], v[vgprValuB_X0_I0+4+0+0], v[32:35]
/*  mfmaIndex:5  */
/* localReadsVacancy: latencyLeft 5 */
_ds_load_b32 v[vgprValuB_X2_I0+0], v[vgprLocalReadAddrB] offset:4608 // L -> Reg lro=1152 swapByteOffset=0 ti=16 vIdx=0 rIdx=0 oIdx=0 buffer=2 iui=0
_ds_load_b32 v[vgprValuB_X2_I0+1], v[vgprLocalReadAddrB] offset:4672 // L -> Reg lro=1152 swapByteOffset=0 ti=16 vIdx=1 rIdx=0 oIdx=0 buffer=2 iui=0
v_mfma_f32_16x16x4_f32 v[40+0:43+0], v[vgprG2LA+0+0], v[vgprValuB_X0_I0+5+0+0], v[40:43]
/*  mfmaIndex:6  */
/* localReadsVacancy: latencyLeft 5 */
_ds_load_b32 v[vgprValuB_X2_I0+2], v[vgprLocalReadAddrB] offset:4736 // L -> Reg lro=1152 swapByteOffset=0 ti=16 vIdx=2 rIdx=0 oIdx=0 buffer=2 iui=0
_ds_load_b32 v[vgprValuB_X2_I0+3], v[vgprLocalReadAddrB] offset:4800 // L -> Reg lro=1152 swapByteOffset=0 ti=16 vIdx=3 rIdx=0 oIdx=0 buffer=2 iui=0
	;; [unrolled: 5-line block ×4, first 2 shown]
v_mfma_f32_16x16x4_f32 v[60+0:63+0], v[vgprG2LA+1+0], v[vgprValuB_X0_I0+7+0+0], v[60:63]
/*  mfmaIndex:9  */
/* localReadsVacancy: latencyLeft 5 */
_ds_load_b32 v[vgprValuB_X3_I0+0], v[vgprLocalReadAddrB] offset:6912 // L -> Reg lro=1728 swapByteOffset=0 ti=16 vIdx=0 rIdx=0 oIdx=0 buffer=3 iui=0
_ds_load_b32 v[vgprValuB_X3_I0+1], v[vgprLocalReadAddrB] offset:6976 // L -> Reg lro=1728 swapByteOffset=0 ti=16 vIdx=1 rIdx=0 oIdx=0 buffer=3 iui=0
v_mfma_f32_16x16x4_f32 v[52+0:55+0], v[vgprG2LA+1+0], v[vgprValuB_X0_I0+6+0+0], v[52:55]
/*  mfmaIndex:10  */
/* localReadsVacancy: latencyLeft 5 */
_ds_load_b32 v[vgprValuB_X3_I0+2], v[vgprLocalReadAddrB] offset:7040 // L -> Reg lro=1728 swapByteOffset=0 ti=16 vIdx=2 rIdx=0 oIdx=0 buffer=3 iui=0
_ds_load_b32 v[vgprValuB_X3_I0+3], v[vgprLocalReadAddrB] offset:7104 // L -> Reg lro=1728 swapByteOffset=0 ti=16 vIdx=3 rIdx=0 oIdx=0 buffer=3 iui=0
	;; [unrolled: 5-line block ×4, first 2 shown]
v_mfma_f32_16x16x4_f32 v[28+0:31+0], v[vgprG2LA+1+0], v[vgprValuB_X0_I0+3+0+0], v[28:31]
/*  mfmaIndex:13  */
/* localReadsVacancy: latencyLeft 5 */
_ds_load_b32 v[vgprValuB_X4_I0+0], v[vgprLocalReadAddrB] offset:9216 // L -> Reg lro=2304 swapByteOffset=0 ti=16 vIdx=0 rIdx=0 oIdx=0 buffer=4 iui=0
_ds_load_b32 v[vgprValuB_X4_I0+1], v[vgprLocalReadAddrB] offset:9280 // L -> Reg lro=2304 swapByteOffset=0 ti=16 vIdx=1 rIdx=0 oIdx=0 buffer=4 iui=0
v_mfma_f32_16x16x4_f32 v[20+0:23+0], v[vgprG2LA+1+0], v[vgprValuB_X0_I0+2+0+0], v[20:23]
/*  mfmaIndex:14  */
/* localReadsVacancy: latencyLeft 5 */
_ds_load_b32 v[vgprValuB_X4_I0+2], v[vgprLocalReadAddrB] offset:9344 // L -> Reg lro=2304 swapByteOffset=0 ti=16 vIdx=2 rIdx=0 oIdx=0 buffer=4 iui=0
_ds_load_b32 v[vgprValuB_X4_I0+3], v[vgprLocalReadAddrB] offset:9408 // L -> Reg lro=2304 swapByteOffset=0 ti=16 vIdx=3 rIdx=0 oIdx=0 buffer=4 iui=0
	;; [unrolled: 5-line block ×3, first 2 shown]
v_mfma_f32_16x16x4_f32 v[4+0:7+0], v[vgprG2LA+1+0], v[vgprValuB_X0_I0+0+0+0], v[4:7]
/* numPrefetchIter=0 */
/* dataAtIterA=-1 numReadsIterA=1 skipReadsIterA=1 readsPerIterA=2 */
/* dataAtIterB=-1 numReadsIterB=1 skipReadsIterB=1 readsPerIterB=8 */


/* iter 1 (last unrolled loop) */

s_waitcnt vmcnt(12)                                // lgkmcnt=-1 vmcnt=12global read wait for DirectToVgpr

/*  grEndMfmaIndex:0, lwStartMfmaIndex:111, lwEndMfmaIndex:111  */
/*  numMfmaForLR:6, barrierMfmaIndex:121, LocalWritePerMfma:0.165 */
/*  mfmaIndex:16  */
/* localReadsVacancy: latencyLeft 5 */
_ds_load_b32 v[vgprValuB_X4_I0+6], v[vgprLocalReadAddrB] offset:9600 // L -> Reg lro=2304 swapByteOffset=0 ti=16 vIdx=6 rIdx=0 oIdx=0 buffer=4 iui=0
_ds_load_b32 v[vgprValuB_X4_I0+7], v[vgprLocalReadAddrB] offset:9664 // L -> Reg lro=2304 swapByteOffset=0 ti=16 vIdx=7 rIdx=0 oIdx=0 buffer=4 iui=0
s_waitcnt lgkmcnt(15)                              // lgkmcnt=0 vmcnt=-1wait for prior local read local write old=8, new=8 newLW=0 newLR=0
v_mfma_f32_16x16x4_f32 v[0+0:3+0], v[vgprG2LA+2+0], v[vgprValuB_X1_I0+0+0+0], v[0:3]
/*  mfmaIndex:17  */
/* localReadsVacancy: latencyLeft 5 */
_ds_load_b32 v[vgprValuB_X5_I0+0], v[vgprLocalReadAddrB] offset:11520 // L -> Reg lro=2880 swapByteOffset=0 ti=16 vIdx=0 rIdx=0 oIdx=0 buffer=5 iui=0
_ds_load_b32 v[vgprValuB_X5_I0+1], v[vgprLocalReadAddrB] offset:11584 // L -> Reg lro=2880 swapByteOffset=0 ti=16 vIdx=1 rIdx=0 oIdx=0 buffer=5 iui=0
v_mfma_f32_16x16x4_f32 v[8+0:11+0], v[vgprG2LA+2+0], v[vgprValuB_X1_I0+1+0+0], v[8:11]
/*  mfmaIndex:18  */
/* localReadsVacancy: latencyLeft 5 */
_ds_load_b32 v[vgprValuB_X5_I0+2], v[vgprLocalReadAddrB] offset:11648 // L -> Reg lro=2880 swapByteOffset=0 ti=16 vIdx=2 rIdx=0 oIdx=0 buffer=5 iui=0
_ds_load_b32 v[vgprValuB_X5_I0+3], v[vgprLocalReadAddrB] offset:11712 // L -> Reg lro=2880 swapByteOffset=0 ti=16 vIdx=3 rIdx=0 oIdx=0 buffer=5 iui=0
	;; [unrolled: 5-line block ×4, first 2 shown]
v_mfma_f32_16x16x4_f32 v[32+0:35+0], v[vgprG2LA+2+0], v[vgprValuB_X1_I0+4+0+0], v[32:35]
/*  mfmaIndex:21  */
/* localReadsVacancy: latencyLeft 5 */
_ds_load_b32 v[vgprValuB_X6_I0+0], v[vgprLocalReadAddrB] offset:13824 // L -> Reg lro=3456 swapByteOffset=0 ti=16 vIdx=0 rIdx=0 oIdx=0 buffer=6 iui=0
_ds_load_b32 v[vgprValuB_X6_I0+1], v[vgprLocalReadAddrB] offset:13888 // L -> Reg lro=3456 swapByteOffset=0 ti=16 vIdx=1 rIdx=0 oIdx=0 buffer=6 iui=0
v_mfma_f32_16x16x4_f32 v[40+0:43+0], v[vgprG2LA+2+0], v[vgprValuB_X1_I0+5+0+0], v[40:43]
/*  mfmaIndex:22  */
/* localReadsVacancy: latencyLeft 5 */
_ds_load_b32 v[vgprValuB_X6_I0+2], v[vgprLocalReadAddrB] offset:13952 // L -> Reg lro=3456 swapByteOffset=0 ti=16 vIdx=2 rIdx=0 oIdx=0 buffer=6 iui=0
_ds_load_b32 v[vgprValuB_X6_I0+3], v[vgprLocalReadAddrB] offset:14016 // L -> Reg lro=3456 swapByteOffset=0 ti=16 vIdx=3 rIdx=0 oIdx=0 buffer=6 iui=0
	;; [unrolled: 5-line block ×4, first 2 shown]
v_mfma_f32_16x16x4_f32 v[60+0:63+0], v[vgprG2LA+3+0], v[vgprValuB_X1_I0+7+0+0], v[60:63]
/*  mfmaIndex:25  */
/* localReadsVacancy: latencyLeft 5 */
_ds_load_b32 v[vgprValuB_X7_I0+0], v[vgprLocalReadAddrB] offset:16128 // L -> Reg lro=4032 swapByteOffset=0 ti=16 vIdx=0 rIdx=0 oIdx=0 buffer=7 iui=0
_ds_load_b32 v[vgprValuB_X7_I0+1], v[vgprLocalReadAddrB] offset:16192 // L -> Reg lro=4032 swapByteOffset=0 ti=16 vIdx=1 rIdx=0 oIdx=0 buffer=7 iui=0
v_mfma_f32_16x16x4_f32 v[52+0:55+0], v[vgprG2LA+3+0], v[vgprValuB_X1_I0+6+0+0], v[52:55]
/*  mfmaIndex:26  */
/* localReadsVacancy: latencyLeft 5 */
_ds_load_b32 v[vgprValuB_X7_I0+2], v[vgprLocalReadAddrB] offset:16256 // L -> Reg lro=4032 swapByteOffset=0 ti=16 vIdx=2 rIdx=0 oIdx=0 buffer=7 iui=0
_ds_load_b32 v[vgprValuB_X7_I0+3], v[vgprLocalReadAddrB] offset:16320 // L -> Reg lro=4032 swapByteOffset=0 ti=16 vIdx=3 rIdx=0 oIdx=0 buffer=7 iui=0
	;; [unrolled: 5-line block ×4, first 2 shown]
v_mfma_f32_16x16x4_f32 v[28+0:31+0], v[vgprG2LA+3+0], v[vgprValuB_X1_I0+3+0+0], v[28:31]
/*  mfmaIndex:29  */
/* localReadsVacancy: latencyLeft 5 */
v_mfma_f32_16x16x4_f32 v[20+0:23+0], v[vgprG2LA+3+0], v[vgprValuB_X1_I0+2+0+0], v[20:23]
/*  mfmaIndex:30  */
/* localReadsVacancy: latencyLeft 5 */
	;; [unrolled: 3-line block ×3, first 2 shown]
v_mfma_f32_16x16x4_f32 v[4+0:7+0], v[vgprG2LA+3+0], v[vgprValuB_X1_I0+0+0+0], v[4:7]
/* numPrefetchIter=0 */
/* dataAtIterA=0 numReadsIterA=2 skipReadsIterA=1 readsPerIterA=2 */
/* dataAtIterB=0 numReadsIterB=2 skipReadsIterB=1 readsPerIterB=8 */


/* iter 2 (last unrolled loop) */

s_waitcnt vmcnt(10)                                // lgkmcnt=-1 vmcnt=10global read wait for DirectToVgpr

/*  grEndMfmaIndex:0, lwStartMfmaIndex:111, lwEndMfmaIndex:111  */
/*  numMfmaForLR:6, barrierMfmaIndex:121, LocalWritePerMfma:0.165 */
/*  mfmaIndex:32  */
/* localReadsVacancy: latencyLeft 5 */
s_waitcnt lgkmcnt(15)                              // lgkmcnt=0 vmcnt=-1wait for prior local read local write old=0, new=0 newLW=0 newLR=0
v_mfma_f32_16x16x4_f32 v[0+0:3+0], v[vgprG2LA+4+0], v[vgprValuB_X2_I0+0+0+0], v[0:3]
/*  mfmaIndex:33  */
/* localReadsVacancy: latencyLeft 5 */
v_mfma_f32_16x16x4_f32 v[8+0:11+0], v[vgprG2LA+4+0], v[vgprValuB_X2_I0+1+0+0], v[8:11]
/*  mfmaIndex:34  */
/* localReadsVacancy: latencyLeft 5 */
	;; [unrolled: 3-line block ×15, first 2 shown]
v_mfma_f32_16x16x4_f32 v[4+0:7+0], v[vgprG2LA+5+0], v[vgprValuB_X2_I0+0+0+0], v[4:7]
/* numPrefetchIter=0 */
/* dataAtIterA=1 numReadsIterA=3 skipReadsIterA=1 readsPerIterA=2 */
/* dataAtIterB=1 numReadsIterB=3 skipReadsIterB=1 readsPerIterB=8 */


/* iter 3 (last unrolled loop) */

s_waitcnt vmcnt(8)                                 // lgkmcnt=-1 vmcnt=8global read wait for DirectToVgpr

/*  grEndMfmaIndex:0, lwStartMfmaIndex:111, lwEndMfmaIndex:111  */
/*  numMfmaForLR:6, barrierMfmaIndex:121, LocalWritePerMfma:0.165 */
/*  mfmaIndex:48  */
/* localReadsVacancy: latencyLeft 5 */
s_waitcnt lgkmcnt(15)                              // lgkmcnt=0 vmcnt=-1wait for prior local read local write old=2, new=2 newLW=0 newLR=0
v_mfma_f32_16x16x4_f32 v[0+0:3+0], v[vgprG2LA+6+0], v[vgprValuB_X3_I0+0+0+0], v[0:3]
/*  mfmaIndex:49  */
/* localReadsVacancy: latencyLeft 5 */
v_mfma_f32_16x16x4_f32 v[8+0:11+0], v[vgprG2LA+6+0], v[vgprValuB_X3_I0+1+0+0], v[8:11]
/*  mfmaIndex:50  */
/* localReadsVacancy: latencyLeft 5 */
v_mfma_f32_16x16x4_f32 v[16+0:19+0], v[vgprG2LA+6+0], v[vgprValuB_X3_I0+2+0+0], v[16:19]
/*  mfmaIndex:51  */
/* localReadsVacancy: latencyLeft 5 */
v_mfma_f32_16x16x4_f32 v[24+0:27+0], v[vgprG2LA+6+0], v[vgprValuB_X3_I0+3+0+0], v[24:27]
/*  mfmaIndex:52  */
/* localReadsVacancy: latencyLeft 5 */
v_mfma_f32_16x16x4_f32 v[32+0:35+0], v[vgprG2LA+6+0], v[vgprValuB_X3_I0+4+0+0], v[32:35]
/*  mfmaIndex:53  */
/* localReadsVacancy: latencyLeft 5 */
v_mfma_f32_16x16x4_f32 v[40+0:43+0], v[vgprG2LA+6+0], v[vgprValuB_X3_I0+5+0+0], v[40:43]
/*  mfmaIndex:54  */
/* localReadsVacancy: latencyLeft 5 */
v_mfma_f32_16x16x4_f32 v[48+0:51+0], v[vgprG2LA+6+0], v[vgprValuB_X3_I0+6+0+0], v[48:51]
/*  mfmaIndex:55  */
/* localReadsVacancy: latencyLeft 5 */
v_mfma_f32_16x16x4_f32 v[56+0:59+0], v[vgprG2LA+6+0], v[vgprValuB_X3_I0+7+0+0], v[56:59]
/*  mfmaIndex:56  */
/* localReadsVacancy: latencyLeft 5 */
v_mfma_f32_16x16x4_f32 v[60+0:63+0], v[vgprG2LA+7+0], v[vgprValuB_X3_I0+7+0+0], v[60:63]
/*  mfmaIndex:57  */
/* localReadsVacancy: latencyLeft 5 */
v_mfma_f32_16x16x4_f32 v[52+0:55+0], v[vgprG2LA+7+0], v[vgprValuB_X3_I0+6+0+0], v[52:55]
/*  mfmaIndex:58  */
/* localReadsVacancy: latencyLeft 5 */
v_mfma_f32_16x16x4_f32 v[44+0:47+0], v[vgprG2LA+7+0], v[vgprValuB_X3_I0+5+0+0], v[44:47]
/*  mfmaIndex:59  */
/* localReadsVacancy: latencyLeft 5 */
v_mfma_f32_16x16x4_f32 v[36+0:39+0], v[vgprG2LA+7+0], v[vgprValuB_X3_I0+4+0+0], v[36:39]
/*  mfmaIndex:60  */
/* localReadsVacancy: latencyLeft 5 */
v_mfma_f32_16x16x4_f32 v[28+0:31+0], v[vgprG2LA+7+0], v[vgprValuB_X3_I0+3+0+0], v[28:31]
/*  mfmaIndex:61  */
/* localReadsVacancy: latencyLeft 5 */
v_mfma_f32_16x16x4_f32 v[20+0:23+0], v[vgprG2LA+7+0], v[vgprValuB_X3_I0+2+0+0], v[20:23]
/*  mfmaIndex:62  */
/* localReadsVacancy: latencyLeft 5 */
v_mfma_f32_16x16x4_f32 v[12+0:15+0], v[vgprG2LA+7+0], v[vgprValuB_X3_I0+1+0+0], v[12:15]
/*  mfmaIndex:63  */
/* localReadsVacancy: latencyLeft 5 */
v_mfma_f32_16x16x4_f32 v[4+0:7+0], v[vgprG2LA+7+0], v[vgprValuB_X3_I0+0+0+0], v[4:7]
/* numPrefetchIter=0 */
/* dataAtIterA=2 numReadsIterA=4 skipReadsIterA=1 readsPerIterA=2 */
/* dataAtIterB=2 numReadsIterB=4 skipReadsIterB=1 readsPerIterB=8 */


/* iter 4 (last unrolled loop) */

s_waitcnt vmcnt(6)                                 // lgkmcnt=-1 vmcnt=6global read wait for DirectToVgpr

/*  grEndMfmaIndex:0, lwStartMfmaIndex:111, lwEndMfmaIndex:111  */
/*  numMfmaForLR:6, barrierMfmaIndex:121, LocalWritePerMfma:0.165 */
/*  mfmaIndex:64  */
/* localReadsVacancy: latencyLeft 5 */
s_waitcnt lgkmcnt(15)                              // lgkmcnt=0 vmcnt=-1wait for prior local read local write old=8, new=8 newLW=0 newLR=0
v_mfma_f32_16x16x4_f32 v[0+0:3+0], v[vgprG2LA+8+0], v[vgprValuB_X4_I0+0+0+0], v[0:3]
/*  mfmaIndex:65  */
/* localReadsVacancy: latencyLeft 5 */
v_mfma_f32_16x16x4_f32 v[8+0:11+0], v[vgprG2LA+8+0], v[vgprValuB_X4_I0+1+0+0], v[8:11]
/*  mfmaIndex:66  */
/* localReadsVacancy: latencyLeft 5 */
	;; [unrolled: 3-line block ×15, first 2 shown]
v_mfma_f32_16x16x4_f32 v[4+0:7+0], v[vgprG2LA+9+0], v[vgprValuB_X4_I0+0+0+0], v[4:7]
/* numPrefetchIter=0 */
/* dataAtIterA=3 numReadsIterA=5 skipReadsIterA=1 readsPerIterA=2 */
/* dataAtIterB=3 numReadsIterB=5 skipReadsIterB=1 readsPerIterB=8 */


/* iter 5 (last unrolled loop) */

s_waitcnt vmcnt(4)                                 // lgkmcnt=-1 vmcnt=4global read wait for DirectToVgpr

/*  grEndMfmaIndex:0, lwStartMfmaIndex:111, lwEndMfmaIndex:111  */
/*  numMfmaForLR:6, barrierMfmaIndex:121, LocalWritePerMfma:0.165 */
/*  mfmaIndex:80  */
/* localReadsVacancy: latencyLeft 5 */
s_waitcnt lgkmcnt(15)                              // lgkmcnt=0 vmcnt=-1wait for prior local read local write old=8, new=8 newLW=0 newLR=0
v_mfma_f32_16x16x4_f32 v[0+0:3+0], v[vgprG2LA+10+0], v[vgprValuB_X5_I0+0+0+0], v[0:3]
/*  mfmaIndex:81  */
/* localReadsVacancy: latencyLeft 5 */
v_mfma_f32_16x16x4_f32 v[8+0:11+0], v[vgprG2LA+10+0], v[vgprValuB_X5_I0+1+0+0], v[8:11]
/*  mfmaIndex:82  */
/* localReadsVacancy: latencyLeft 5 */
	;; [unrolled: 3-line block ×15, first 2 shown]
v_mfma_f32_16x16x4_f32 v[4+0:7+0], v[vgprG2LA+11+0], v[vgprValuB_X5_I0+0+0+0], v[4:7]
/* numPrefetchIter=0 */
/* dataAtIterA=4 numReadsIterA=6 skipReadsIterA=1 readsPerIterA=2 */
/* dataAtIterB=4 numReadsIterB=6 skipReadsIterB=1 readsPerIterB=8 */


/* iter 6 (last unrolled loop) */

s_waitcnt vmcnt(2)                                 // lgkmcnt=-1 vmcnt=2global read wait for DirectToVgpr

/*  grEndMfmaIndex:0, lwStartMfmaIndex:111, lwEndMfmaIndex:111  */
/*  numMfmaForLR:6, barrierMfmaIndex:121, LocalWritePerMfma:0.165 */
/*  mfmaIndex:96  */
/* localReadsVacancy: latencyLeft 5 */
s_waitcnt lgkmcnt(8)                               // lgkmcnt=0 vmcnt=-1wait for prior local read local write old=8, new=8 newLW=0 newLR=0
v_mfma_f32_16x16x4_f32 v[0+0:3+0], v[vgprG2LA+12+0], v[vgprValuB_X6_I0+0+0+0], v[0:3]
/*  mfmaIndex:97  */
/* localReadsVacancy: latencyLeft 5 */
v_mfma_f32_16x16x4_f32 v[8+0:11+0], v[vgprG2LA+12+0], v[vgprValuB_X6_I0+1+0+0], v[8:11]
/*  mfmaIndex:98  */
/* localReadsVacancy: latencyLeft 5 */
	;; [unrolled: 3-line block ×14, first 2 shown]
/* 1 LDS buffer: read-sync-write */
s_waitcnt lgkmcnt(0)                               // 
s_barrier                                          // 
v_mfma_f32_16x16x4_f32 v[12+0:15+0], v[vgprG2LA+13+0], v[vgprValuB_X6_I0+1+0+0], v[12:15]
/*  mfmaIndex:111  */
/* localReadsVacancy: latencyLeft 5 */
s_setprio 3                                        // store optimization
v_mfma_f32_16x16x4_f32 v[4+0:7+0], v[vgprG2LA+13+0], v[vgprValuB_X6_I0+0+0+0], v[4:7]
/* numPrefetchIter=0 */
/* dataAtIterA=5 numReadsIterA=7 skipReadsIterA=1 readsPerIterA=2 */
/* dataAtIterB=5 numReadsIterB=7 skipReadsIterB=1 readsPerIterB=8 */


/* iter 7 (last unrolled loop) */

s_waitcnt vmcnt(0)                                 // lgkmcnt=-1 vmcnt=0global read wait for DirectToVgpr

/*  grEndMfmaIndex:0, lwStartMfmaIndex:111, lwEndMfmaIndex:111  */
/*  numMfmaForLR:6, barrierMfmaIndex:121, LocalWritePerMfma:0.165 */
/*  mfmaIndex:112  */
v_mfma_f32_16x16x4_f32 v[0+0:3+0], v[vgprG2LA+14+0], v[vgprValuB_X7_I0+0+0+0], v[0:3]
/*  mfmaIndex:113  */
v_mfma_f32_16x16x4_f32 v[8+0:11+0], v[vgprG2LA+14+0], v[vgprValuB_X7_I0+1+0+0], v[8:11]
	;; [unrolled: 2-line block ×9, first 2 shown]
s_setprio 0                                        // store optimization
/*  mfmaIndex:121  */
v_mfma_f32_16x16x4_f32 v[12+0:15+0], v[vgprG2LA+15+0], v[vgprValuB_X7_I0+1+0+0], v[12:15]
/*  mfmaIndex:122  */
s_setprio 3                                        // store optimization
v_mfma_f32_16x16x4_f32 v[20+0:23+0], v[vgprG2LA+15+0], v[vgprValuB_X7_I0+2+0+0], v[20:23]
/*  mfmaIndex:123  */
v_mfma_f32_16x16x4_f32 v[28+0:31+0], v[vgprG2LA+15+0], v[vgprValuB_X7_I0+3+0+0], v[28:31]
/*  mfmaIndex:124  */
	;; [unrolled: 2-line block ×5, first 2 shown]
v_mfma_f32_16x16x4_f32 v[60+0:63+0], v[vgprG2LA+15+0], v[vgprValuB_X7_I0+7+0+0], v[60:63]

s_branch label_0021                                // Skip even code
label_0020: // EvenStartNoLoadLoopOpt 


	;; [unrolled: 1-line block ×3, first 2 shown]
/* iter 0 (last unrolled loop) */

s_waitcnt vmcnt(14)                                // lgkmcnt=-1 vmcnt=14global read wait for DirectToVgpr

/*  grEndMfmaIndex:0, lwStartMfmaIndex:111, lwEndMfmaIndex:111  */
/*  numMfmaForLR:6, barrierMfmaIndex:121, LocalWritePerMfma:0.165 */
/*  mfmaIndex:0  */
s_waitcnt lgkmcnt(0)                               // lgkmcnt=0 vmcnt=-1wait for prior local read local write old=0, new=0 newLW=0 newLR=0
v_mfma_f32_16x16x4_f32 v[0+0:3+0], v[vgprG2LA+16+0], v[vgprValuB_X0_I0+0+0+0], v[0:3]
/*  mfmaIndex:1  */
_ds_load_b32 v[vgprValuB_X1_I0+0], v[vgprLocalReadAddrB] offset:2304 // L -> Reg lro=576 swapByteOffset=0 ti=16 vIdx=0 rIdx=0 oIdx=0 buffer=1 iui=0
_ds_load_b32 v[vgprValuB_X1_I0+1], v[vgprLocalReadAddrB] offset:2368 // L -> Reg lro=576 swapByteOffset=0 ti=16 vIdx=1 rIdx=0 oIdx=0 buffer=1 iui=0
v_mfma_f32_16x16x4_f32 v[8+0:11+0], v[vgprG2LA+16+0], v[vgprValuB_X0_I0+1+0+0], v[8:11]
/*  mfmaIndex:2  */
_ds_load_b32 v[vgprValuB_X1_I0+2], v[vgprLocalReadAddrB] offset:2432 // L -> Reg lro=576 swapByteOffset=0 ti=16 vIdx=2 rIdx=0 oIdx=0 buffer=1 iui=0
_ds_load_b32 v[vgprValuB_X1_I0+3], v[vgprLocalReadAddrB] offset:2496 // L -> Reg lro=576 swapByteOffset=0 ti=16 vIdx=3 rIdx=0 oIdx=0 buffer=1 iui=0
	;; [unrolled: 4-line block ×4, first 2 shown]
/* localReadsVacancy: latencyLeft 1 */
v_mfma_f32_16x16x4_f32 v[32+0:35+0], v[vgprG2LA+16+0], v[vgprValuB_X0_I0+4+0+0], v[32:35]
/*  mfmaIndex:5  */
/* localReadsVacancy: latencyLeft 5 */
_ds_load_b32 v[vgprValuB_X2_I0+0], v[vgprLocalReadAddrB] offset:4608 // L -> Reg lro=1152 swapByteOffset=0 ti=16 vIdx=0 rIdx=0 oIdx=0 buffer=2 iui=0
_ds_load_b32 v[vgprValuB_X2_I0+1], v[vgprLocalReadAddrB] offset:4672 // L -> Reg lro=1152 swapByteOffset=0 ti=16 vIdx=1 rIdx=0 oIdx=0 buffer=2 iui=0
v_mfma_f32_16x16x4_f32 v[40+0:43+0], v[vgprG2LA+16+0], v[vgprValuB_X0_I0+5+0+0], v[40:43]
/*  mfmaIndex:6  */
/* localReadsVacancy: latencyLeft 5 */
_ds_load_b32 v[vgprValuB_X2_I0+2], v[vgprLocalReadAddrB] offset:4736 // L -> Reg lro=1152 swapByteOffset=0 ti=16 vIdx=2 rIdx=0 oIdx=0 buffer=2 iui=0
_ds_load_b32 v[vgprValuB_X2_I0+3], v[vgprLocalReadAddrB] offset:4800 // L -> Reg lro=1152 swapByteOffset=0 ti=16 vIdx=3 rIdx=0 oIdx=0 buffer=2 iui=0
v_mfma_f32_16x16x4_f32 v[48+0:51+0], v[vgprG2LA+16+0], v[vgprValuB_X0_I0+6+0+0], v[48:51]
/*  mfmaIndex:7  */
/* localReadsVacancy: latencyLeft 5 */
_ds_load_b32 v[vgprValuB_X2_I0+4], v[vgprLocalReadAddrB] offset:4864 // L -> Reg lro=1152 swapByteOffset=0 ti=16 vIdx=4 rIdx=0 oIdx=0 buffer=2 iui=0
_ds_load_b32 v[vgprValuB_X2_I0+5], v[vgprLocalReadAddrB] offset:4928 // L -> Reg lro=1152 swapByteOffset=0 ti=16 vIdx=5 rIdx=0 oIdx=0 buffer=2 iui=0
v_mfma_f32_16x16x4_f32 v[56+0:59+0], v[vgprG2LA+16+0], v[vgprValuB_X0_I0+7+0+0], v[56:59]
/*  mfmaIndex:8  */
/* localReadsVacancy: latencyLeft 5 */
_ds_load_b32 v[vgprValuB_X2_I0+6], v[vgprLocalReadAddrB] offset:4992 // L -> Reg lro=1152 swapByteOffset=0 ti=16 vIdx=6 rIdx=0 oIdx=0 buffer=2 iui=0
_ds_load_b32 v[vgprValuB_X2_I0+7], v[vgprLocalReadAddrB] offset:5056 // L -> Reg lro=1152 swapByteOffset=0 ti=16 vIdx=7 rIdx=0 oIdx=0 buffer=2 iui=0
v_mfma_f32_16x16x4_f32 v[60+0:63+0], v[vgprG2LA+17+0], v[vgprValuB_X0_I0+7+0+0], v[60:63]
/*  mfmaIndex:9  */
/* localReadsVacancy: latencyLeft 5 */
_ds_load_b32 v[vgprValuB_X3_I0+0], v[vgprLocalReadAddrB] offset:6912 // L -> Reg lro=1728 swapByteOffset=0 ti=16 vIdx=0 rIdx=0 oIdx=0 buffer=3 iui=0
_ds_load_b32 v[vgprValuB_X3_I0+1], v[vgprLocalReadAddrB] offset:6976 // L -> Reg lro=1728 swapByteOffset=0 ti=16 vIdx=1 rIdx=0 oIdx=0 buffer=3 iui=0
v_mfma_f32_16x16x4_f32 v[52+0:55+0], v[vgprG2LA+17+0], v[vgprValuB_X0_I0+6+0+0], v[52:55]
/*  mfmaIndex:10  */
/* localReadsVacancy: latencyLeft 5 */
_ds_load_b32 v[vgprValuB_X3_I0+2], v[vgprLocalReadAddrB] offset:7040 // L -> Reg lro=1728 swapByteOffset=0 ti=16 vIdx=2 rIdx=0 oIdx=0 buffer=3 iui=0
_ds_load_b32 v[vgprValuB_X3_I0+3], v[vgprLocalReadAddrB] offset:7104 // L -> Reg lro=1728 swapByteOffset=0 ti=16 vIdx=3 rIdx=0 oIdx=0 buffer=3 iui=0
	;; [unrolled: 5-line block ×4, first 2 shown]
v_mfma_f32_16x16x4_f32 v[28+0:31+0], v[vgprG2LA+17+0], v[vgprValuB_X0_I0+3+0+0], v[28:31]
/*  mfmaIndex:13  */
/* localReadsVacancy: latencyLeft 5 */
_ds_load_b32 v[vgprValuB_X4_I0+0], v[vgprLocalReadAddrB] offset:9216 // L -> Reg lro=2304 swapByteOffset=0 ti=16 vIdx=0 rIdx=0 oIdx=0 buffer=4 iui=0
_ds_load_b32 v[vgprValuB_X4_I0+1], v[vgprLocalReadAddrB] offset:9280 // L -> Reg lro=2304 swapByteOffset=0 ti=16 vIdx=1 rIdx=0 oIdx=0 buffer=4 iui=0
v_mfma_f32_16x16x4_f32 v[20+0:23+0], v[vgprG2LA+17+0], v[vgprValuB_X0_I0+2+0+0], v[20:23]
/*  mfmaIndex:14  */
/* localReadsVacancy: latencyLeft 5 */
_ds_load_b32 v[vgprValuB_X4_I0+2], v[vgprLocalReadAddrB] offset:9344 // L -> Reg lro=2304 swapByteOffset=0 ti=16 vIdx=2 rIdx=0 oIdx=0 buffer=4 iui=0
_ds_load_b32 v[vgprValuB_X4_I0+3], v[vgprLocalReadAddrB] offset:9408 // L -> Reg lro=2304 swapByteOffset=0 ti=16 vIdx=3 rIdx=0 oIdx=0 buffer=4 iui=0
	;; [unrolled: 5-line block ×3, first 2 shown]
v_mfma_f32_16x16x4_f32 v[4+0:7+0], v[vgprG2LA+17+0], v[vgprValuB_X0_I0+0+0+0], v[4:7]
/* numPrefetchIter=0 */
/* dataAtIterA=-1 numReadsIterA=1 skipReadsIterA=1 readsPerIterA=2 */
/* dataAtIterB=-1 numReadsIterB=1 skipReadsIterB=1 readsPerIterB=8 */


/* iter 1 (last unrolled loop) */

s_waitcnt vmcnt(12)                                // lgkmcnt=-1 vmcnt=12global read wait for DirectToVgpr

/*  grEndMfmaIndex:0, lwStartMfmaIndex:111, lwEndMfmaIndex:111  */
/*  numMfmaForLR:6, barrierMfmaIndex:121, LocalWritePerMfma:0.165 */
/*  mfmaIndex:16  */
/* localReadsVacancy: latencyLeft 5 */
_ds_load_b32 v[vgprValuB_X4_I0+6], v[vgprLocalReadAddrB] offset:9600 // L -> Reg lro=2304 swapByteOffset=0 ti=16 vIdx=6 rIdx=0 oIdx=0 buffer=4 iui=0
_ds_load_b32 v[vgprValuB_X4_I0+7], v[vgprLocalReadAddrB] offset:9664 // L -> Reg lro=2304 swapByteOffset=0 ti=16 vIdx=7 rIdx=0 oIdx=0 buffer=4 iui=0
s_waitcnt lgkmcnt(15)                              // lgkmcnt=0 vmcnt=-1wait for prior local read local write old=8, new=8 newLW=0 newLR=0
v_mfma_f32_16x16x4_f32 v[0+0:3+0], v[vgprG2LA+18+0], v[vgprValuB_X1_I0+0+0+0], v[0:3]
/*  mfmaIndex:17  */
/* localReadsVacancy: latencyLeft 5 */
_ds_load_b32 v[vgprValuB_X5_I0+0], v[vgprLocalReadAddrB] offset:11520 // L -> Reg lro=2880 swapByteOffset=0 ti=16 vIdx=0 rIdx=0 oIdx=0 buffer=5 iui=0
_ds_load_b32 v[vgprValuB_X5_I0+1], v[vgprLocalReadAddrB] offset:11584 // L -> Reg lro=2880 swapByteOffset=0 ti=16 vIdx=1 rIdx=0 oIdx=0 buffer=5 iui=0
v_mfma_f32_16x16x4_f32 v[8+0:11+0], v[vgprG2LA+18+0], v[vgprValuB_X1_I0+1+0+0], v[8:11]
/*  mfmaIndex:18  */
/* localReadsVacancy: latencyLeft 5 */
_ds_load_b32 v[vgprValuB_X5_I0+2], v[vgprLocalReadAddrB] offset:11648 // L -> Reg lro=2880 swapByteOffset=0 ti=16 vIdx=2 rIdx=0 oIdx=0 buffer=5 iui=0
_ds_load_b32 v[vgprValuB_X5_I0+3], v[vgprLocalReadAddrB] offset:11712 // L -> Reg lro=2880 swapByteOffset=0 ti=16 vIdx=3 rIdx=0 oIdx=0 buffer=5 iui=0
	;; [unrolled: 5-line block ×4, first 2 shown]
v_mfma_f32_16x16x4_f32 v[32+0:35+0], v[vgprG2LA+18+0], v[vgprValuB_X1_I0+4+0+0], v[32:35]
/*  mfmaIndex:21  */
/* localReadsVacancy: latencyLeft 5 */
_ds_load_b32 v[vgprValuB_X6_I0+0], v[vgprLocalReadAddrB] offset:13824 // L -> Reg lro=3456 swapByteOffset=0 ti=16 vIdx=0 rIdx=0 oIdx=0 buffer=6 iui=0
_ds_load_b32 v[vgprValuB_X6_I0+1], v[vgprLocalReadAddrB] offset:13888 // L -> Reg lro=3456 swapByteOffset=0 ti=16 vIdx=1 rIdx=0 oIdx=0 buffer=6 iui=0
v_mfma_f32_16x16x4_f32 v[40+0:43+0], v[vgprG2LA+18+0], v[vgprValuB_X1_I0+5+0+0], v[40:43]
/*  mfmaIndex:22  */
/* localReadsVacancy: latencyLeft 5 */
_ds_load_b32 v[vgprValuB_X6_I0+2], v[vgprLocalReadAddrB] offset:13952 // L -> Reg lro=3456 swapByteOffset=0 ti=16 vIdx=2 rIdx=0 oIdx=0 buffer=6 iui=0
_ds_load_b32 v[vgprValuB_X6_I0+3], v[vgprLocalReadAddrB] offset:14016 // L -> Reg lro=3456 swapByteOffset=0 ti=16 vIdx=3 rIdx=0 oIdx=0 buffer=6 iui=0
	;; [unrolled: 5-line block ×4, first 2 shown]
v_mfma_f32_16x16x4_f32 v[60+0:63+0], v[vgprG2LA+19+0], v[vgprValuB_X1_I0+7+0+0], v[60:63]
/*  mfmaIndex:25  */
/* localReadsVacancy: latencyLeft 5 */
_ds_load_b32 v[vgprValuB_X7_I0+0], v[vgprLocalReadAddrB] offset:16128 // L -> Reg lro=4032 swapByteOffset=0 ti=16 vIdx=0 rIdx=0 oIdx=0 buffer=7 iui=0
_ds_load_b32 v[vgprValuB_X7_I0+1], v[vgprLocalReadAddrB] offset:16192 // L -> Reg lro=4032 swapByteOffset=0 ti=16 vIdx=1 rIdx=0 oIdx=0 buffer=7 iui=0
v_mfma_f32_16x16x4_f32 v[52+0:55+0], v[vgprG2LA+19+0], v[vgprValuB_X1_I0+6+0+0], v[52:55]
/*  mfmaIndex:26  */
/* localReadsVacancy: latencyLeft 5 */
_ds_load_b32 v[vgprValuB_X7_I0+2], v[vgprLocalReadAddrB] offset:16256 // L -> Reg lro=4032 swapByteOffset=0 ti=16 vIdx=2 rIdx=0 oIdx=0 buffer=7 iui=0
_ds_load_b32 v[vgprValuB_X7_I0+3], v[vgprLocalReadAddrB] offset:16320 // L -> Reg lro=4032 swapByteOffset=0 ti=16 vIdx=3 rIdx=0 oIdx=0 buffer=7 iui=0
	;; [unrolled: 5-line block ×4, first 2 shown]
v_mfma_f32_16x16x4_f32 v[28+0:31+0], v[vgprG2LA+19+0], v[vgprValuB_X1_I0+3+0+0], v[28:31]
/*  mfmaIndex:29  */
/* localReadsVacancy: latencyLeft 5 */
v_mfma_f32_16x16x4_f32 v[20+0:23+0], v[vgprG2LA+19+0], v[vgprValuB_X1_I0+2+0+0], v[20:23]
/*  mfmaIndex:30  */
/* localReadsVacancy: latencyLeft 5 */
v_mfma_f32_16x16x4_f32 v[12+0:15+0], v[vgprG2LA+19+0], v[vgprValuB_X1_I0+1+0+0], v[12:15]
/*  mfmaIndex:31  */
/* localReadsVacancy: latencyLeft 5 */
v_mfma_f32_16x16x4_f32 v[4+0:7+0], v[vgprG2LA+19+0], v[vgprValuB_X1_I0+0+0+0], v[4:7]
/* numPrefetchIter=0 */
/* dataAtIterA=0 numReadsIterA=2 skipReadsIterA=1 readsPerIterA=2 */
/* dataAtIterB=0 numReadsIterB=2 skipReadsIterB=1 readsPerIterB=8 */


/* iter 2 (last unrolled loop) */

s_waitcnt vmcnt(10)                                // lgkmcnt=-1 vmcnt=10global read wait for DirectToVgpr

/*  grEndMfmaIndex:0, lwStartMfmaIndex:111, lwEndMfmaIndex:111  */
/*  numMfmaForLR:6, barrierMfmaIndex:121, LocalWritePerMfma:0.165 */
/*  mfmaIndex:32  */
/* localReadsVacancy: latencyLeft 5 */
s_waitcnt lgkmcnt(15)                              // lgkmcnt=0 vmcnt=-1wait for prior local read local write old=0, new=0 newLW=0 newLR=0
v_mfma_f32_16x16x4_f32 v[0+0:3+0], v[vgprG2LA+20+0], v[vgprValuB_X2_I0+0+0+0], v[0:3]
/*  mfmaIndex:33  */
/* localReadsVacancy: latencyLeft 5 */
v_mfma_f32_16x16x4_f32 v[8+0:11+0], v[vgprG2LA+20+0], v[vgprValuB_X2_I0+1+0+0], v[8:11]
/*  mfmaIndex:34  */
/* localReadsVacancy: latencyLeft 5 */
	;; [unrolled: 3-line block ×15, first 2 shown]
v_mfma_f32_16x16x4_f32 v[4+0:7+0], v[vgprG2LA+21+0], v[vgprValuB_X2_I0+0+0+0], v[4:7]
/* numPrefetchIter=0 */
/* dataAtIterA=1 numReadsIterA=3 skipReadsIterA=1 readsPerIterA=2 */
/* dataAtIterB=1 numReadsIterB=3 skipReadsIterB=1 readsPerIterB=8 */


/* iter 3 (last unrolled loop) */

s_waitcnt vmcnt(8)                                 // lgkmcnt=-1 vmcnt=8global read wait for DirectToVgpr

/*  grEndMfmaIndex:0, lwStartMfmaIndex:111, lwEndMfmaIndex:111  */
/*  numMfmaForLR:6, barrierMfmaIndex:121, LocalWritePerMfma:0.165 */
/*  mfmaIndex:48  */
/* localReadsVacancy: latencyLeft 5 */
s_waitcnt lgkmcnt(15)                              // lgkmcnt=0 vmcnt=-1wait for prior local read local write old=2, new=2 newLW=0 newLR=0
v_mfma_f32_16x16x4_f32 v[0+0:3+0], v[vgprG2LA+22+0], v[vgprValuB_X3_I0+0+0+0], v[0:3]
/*  mfmaIndex:49  */
/* localReadsVacancy: latencyLeft 5 */
v_mfma_f32_16x16x4_f32 v[8+0:11+0], v[vgprG2LA+22+0], v[vgprValuB_X3_I0+1+0+0], v[8:11]
/*  mfmaIndex:50  */
/* localReadsVacancy: latencyLeft 5 */
	;; [unrolled: 3-line block ×15, first 2 shown]
v_mfma_f32_16x16x4_f32 v[4+0:7+0], v[vgprG2LA+23+0], v[vgprValuB_X3_I0+0+0+0], v[4:7]
/* numPrefetchIter=0 */
/* dataAtIterA=2 numReadsIterA=4 skipReadsIterA=1 readsPerIterA=2 */
/* dataAtIterB=2 numReadsIterB=4 skipReadsIterB=1 readsPerIterB=8 */


/* iter 4 (last unrolled loop) */

s_waitcnt vmcnt(6)                                 // lgkmcnt=-1 vmcnt=6global read wait for DirectToVgpr

/*  grEndMfmaIndex:0, lwStartMfmaIndex:111, lwEndMfmaIndex:111  */
/*  numMfmaForLR:6, barrierMfmaIndex:121, LocalWritePerMfma:0.165 */
/*  mfmaIndex:64  */
/* localReadsVacancy: latencyLeft 5 */
s_waitcnt lgkmcnt(15)                              // lgkmcnt=0 vmcnt=-1wait for prior local read local write old=8, new=8 newLW=0 newLR=0
v_mfma_f32_16x16x4_f32 v[0+0:3+0], v[vgprG2LA+24+0], v[vgprValuB_X4_I0+0+0+0], v[0:3]
/*  mfmaIndex:65  */
/* localReadsVacancy: latencyLeft 5 */
v_mfma_f32_16x16x4_f32 v[8+0:11+0], v[vgprG2LA+24+0], v[vgprValuB_X4_I0+1+0+0], v[8:11]
/*  mfmaIndex:66  */
/* localReadsVacancy: latencyLeft 5 */
	;; [unrolled: 3-line block ×15, first 2 shown]
v_mfma_f32_16x16x4_f32 v[4+0:7+0], v[vgprG2LA+25+0], v[vgprValuB_X4_I0+0+0+0], v[4:7]
/* numPrefetchIter=0 */
/* dataAtIterA=3 numReadsIterA=5 skipReadsIterA=1 readsPerIterA=2 */
/* dataAtIterB=3 numReadsIterB=5 skipReadsIterB=1 readsPerIterB=8 */


/* iter 5 (last unrolled loop) */

s_waitcnt vmcnt(4)                                 // lgkmcnt=-1 vmcnt=4global read wait for DirectToVgpr

/*  grEndMfmaIndex:0, lwStartMfmaIndex:111, lwEndMfmaIndex:111  */
/*  numMfmaForLR:6, barrierMfmaIndex:121, LocalWritePerMfma:0.165 */
/*  mfmaIndex:80  */
/* localReadsVacancy: latencyLeft 5 */
s_waitcnt lgkmcnt(15)                              // lgkmcnt=0 vmcnt=-1wait for prior local read local write old=8, new=8 newLW=0 newLR=0
v_mfma_f32_16x16x4_f32 v[0+0:3+0], v[vgprG2LA+26+0], v[vgprValuB_X5_I0+0+0+0], v[0:3]
/*  mfmaIndex:81  */
/* localReadsVacancy: latencyLeft 5 */
v_mfma_f32_16x16x4_f32 v[8+0:11+0], v[vgprG2LA+26+0], v[vgprValuB_X5_I0+1+0+0], v[8:11]
/*  mfmaIndex:82  */
/* localReadsVacancy: latencyLeft 5 */
	;; [unrolled: 3-line block ×15, first 2 shown]
v_mfma_f32_16x16x4_f32 v[4+0:7+0], v[vgprG2LA+27+0], v[vgprValuB_X5_I0+0+0+0], v[4:7]
/* numPrefetchIter=0 */
/* dataAtIterA=4 numReadsIterA=6 skipReadsIterA=1 readsPerIterA=2 */
/* dataAtIterB=4 numReadsIterB=6 skipReadsIterB=1 readsPerIterB=8 */


/* iter 6 (last unrolled loop) */

s_waitcnt vmcnt(2)                                 // lgkmcnt=-1 vmcnt=2global read wait for DirectToVgpr

/*  grEndMfmaIndex:0, lwStartMfmaIndex:111, lwEndMfmaIndex:111  */
/*  numMfmaForLR:6, barrierMfmaIndex:121, LocalWritePerMfma:0.165 */
/*  mfmaIndex:96  */
/* localReadsVacancy: latencyLeft 5 */
s_waitcnt lgkmcnt(8)                               // lgkmcnt=0 vmcnt=-1wait for prior local read local write old=8, new=8 newLW=0 newLR=0
v_mfma_f32_16x16x4_f32 v[0+0:3+0], v[vgprG2LA+28+0], v[vgprValuB_X6_I0+0+0+0], v[0:3]
/*  mfmaIndex:97  */
/* localReadsVacancy: latencyLeft 5 */
v_mfma_f32_16x16x4_f32 v[8+0:11+0], v[vgprG2LA+28+0], v[vgprValuB_X6_I0+1+0+0], v[8:11]
/*  mfmaIndex:98  */
/* localReadsVacancy: latencyLeft 5 */
	;; [unrolled: 3-line block ×14, first 2 shown]
/* 1 LDS buffer: read-sync-write */
s_waitcnt lgkmcnt(0)                               // 
s_barrier                                          // 
v_mfma_f32_16x16x4_f32 v[12+0:15+0], v[vgprG2LA+29+0], v[vgprValuB_X6_I0+1+0+0], v[12:15]
/*  mfmaIndex:111  */
/* localReadsVacancy: latencyLeft 5 */
s_setprio 3                                        // store optimization
v_mfma_f32_16x16x4_f32 v[4+0:7+0], v[vgprG2LA+29+0], v[vgprValuB_X6_I0+0+0+0], v[4:7]
/* numPrefetchIter=0 */
/* dataAtIterA=5 numReadsIterA=7 skipReadsIterA=1 readsPerIterA=2 */
/* dataAtIterB=5 numReadsIterB=7 skipReadsIterB=1 readsPerIterB=8 */


/* iter 7 (last unrolled loop) */

s_waitcnt vmcnt(0)                                 // lgkmcnt=-1 vmcnt=0global read wait for DirectToVgpr

/*  grEndMfmaIndex:0, lwStartMfmaIndex:111, lwEndMfmaIndex:111  */
/*  numMfmaForLR:6, barrierMfmaIndex:121, LocalWritePerMfma:0.165 */
/*  mfmaIndex:112  */
v_mfma_f32_16x16x4_f32 v[0+0:3+0], v[vgprG2LA+30+0], v[vgprValuB_X7_I0+0+0+0], v[0:3]
/*  mfmaIndex:113  */
v_mfma_f32_16x16x4_f32 v[8+0:11+0], v[vgprG2LA+30+0], v[vgprValuB_X7_I0+1+0+0], v[8:11]
	;; [unrolled: 2-line block ×9, first 2 shown]
s_setprio 0                                        // store optimization
/*  mfmaIndex:121  */
v_mfma_f32_16x16x4_f32 v[12+0:15+0], v[vgprG2LA+31+0], v[vgprValuB_X7_I0+1+0+0], v[12:15]
/*  mfmaIndex:122  */
s_setprio 3                                        // store optimization
v_mfma_f32_16x16x4_f32 v[20+0:23+0], v[vgprG2LA+31+0], v[vgprValuB_X7_I0+2+0+0], v[20:23]
/*  mfmaIndex:123  */
v_mfma_f32_16x16x4_f32 v[28+0:31+0], v[vgprG2LA+31+0], v[vgprValuB_X7_I0+3+0+0], v[28:31]
/*  mfmaIndex:124  */
	;; [unrolled: 2-line block ×5, first 2 shown]
v_mfma_f32_16x16x4_f32 v[60+0:63+0], v[vgprG2LA+31+0], v[vgprValuB_X7_I0+7+0+0], v[60:63]

label_0021: // EvenEndNoLoadLoopOpt 

/* Stores for OptNLL */
Summation_End_OptNLL_22:
s_setprio 0                                        // optimization store
/* endSummation: add vgpr [64...198) to pool */

/* Mapping of Acc register -> C Vgpr register */

/* Multiply MI out register with Alpha -> C Vgpr register */
/* computeStoreVgprs */
v_lshrrev_b32 v68, 6, v[vgprSerial]                // v68 = v[vgprSerial] / 64
v_lshrrev_b32 v65, 2, v68                          // v65 = v68 / 4
v_mul_lo_u32 v65, 0x10, v65                        // wave coordination offset 1
v_and_b32 v69, 15, v[vgprSerial]                   // v69 = v[vgprSerial] % 16
_v_add_lshl_u32 v65, v69, v65, 0                   // coordination 1 = vwb *(wave_id1 + tid1)
v_mul_lo_u32 v66, v65, s[sgprStrideC1J]            //  offset 1
v_mul_lo_u32 v67, v65, s[sgprStrideD1J]            //  offset 1
v_and_b32 v64, 63, v[vgprSerial]                   // v64 = v[vgprSerial] % 64
v_lshrrev_b32 v64, 4, v64                          // v64 = v64 / 16
v_lshlrev_b32 v64, 0x2, v64                        // thread0 * continuous_output
v_and_b32 v69, 3, v68                              // v69 = v68 % 4
v_mul_lo_u32 v69, 0x10, v69                        // wave coordination offset 0
_v_add_lshl_u32 v64, v69, v64, 0                   // coordination 0 = vwa *(wave_id0 + tid0)
s_mul_i32 s53, 128, s[sgprWorkGroup0]              // wgp0 * MT0
_v_add_u32 v64, s53, v64                           // coord 0 = (tid0/MI_m)*4 + waveG0*MIB_m + MT0*SG0
s_mul_i32 s53, 128, s[sgprWorkGroup1]              // wgp1 * MT1
_v_add_u32 v65, s53, v65                           // coord 1 = (tid0%MI_m) + waveG1*MIB_n + MT1*SG1
GW_B0_E0_25:

/* edge=0, allocate 2 sgpr. perBatchTmpS=2 perBatchMaskS=0 perElementMaskS=0 elementsPerBatch=16 */
/* optSingleColVgpr=1 optSharedColVgpr=0 optSGPRUsage=BufferLoad_Mask optSrdIncForRow=1 */
s_sleep 3 // optimization: sync and wait
s_barrier

/******************************************/
/* Global Write Batch #0 (d1,d0,vc1,vc0) = */
/*    (0,0,0,0:vw4); (0,1,0,0:vw4); (1,0,0,0:vw4); (1,1,0,0:vw4); (2,0,0,0:vw4); (2,1,0,0:vw4); (3,0,0,0:vw4); (3,1,0,0:vw4); (4,0,0,0:vw4); (4,1,0,0:vw4); (5,0,0,0:vw4); (5,1,0,0:vw4); (6,0,0,0:vw4); (6,1,0,0:vw4); (7,0,0,0:vw4); (7,1,0,0:vw4) */
/******************************************/

/* calc coords, apply mask, and issue loads (if necessary) */
/* (d1,vc1,d0,vc0)=(0,0,0,0) */
/* (d1,vc1,d0,vc0)=(0,0,1,0) */
	;; [unrolled: 1-line block ×16, first 2 shown]
_v_add_lshl_u32 v70, v67, v64, 0x2                 // optSingleColVgpr scaleToBpe: sharedAddrVgpr <- cinRowPtr + coord0, scaled by BPE. BSHERE:coord0=64, coord0Vgpr=64
v_mov_b32 v[vgprValuC+72], v[vgprValuC+0] // copy MI out reg to vreg[0]
v_mov_b32 v[vgprValuC+73], v[vgprValuC+1] // copy MI out reg to vreg[1]
	;; [unrolled: 1-line block ×64, first 2 shown]

/* apply mask, calc new C and issue writes */
_buffer_store_b128 v[72:75], v70, s[sgprSrdD:sgprSrdD+3], 0, offen, offset:0,  sc0 sc1 // store D
_buffer_store_b128 v[76:79], v70, s[sgprSrdD:sgprSrdD+3], 0, offen, offset:256,  sc0 sc1 // store D
s_mul_i32 s54, s[sgprStrideD1J], 64                // scale StrideD *= numRows(16) * bpe
s_add_u32  s[sgprSrdD+0], s[sgprSrdD+0], s54       // incToNextRow: gra SRD += inc(lower)
s_addc_u32  s[sgprSrdD+1], s[sgprSrdD+1], 0        // incToNextRow: gra SRD += inc(upper)
_buffer_store_b128 v[80:83], v70, s[sgprSrdD:sgprSrdD+3], 0, offen, offset:0,  sc0 sc1 // store D
_buffer_store_b128 v[84:87], v70, s[sgprSrdD:sgprSrdD+3], 0, offen, offset:256,  sc0 sc1 // store D
s_mul_i32 s54, s[sgprStrideD1J], 64                // scale StrideD *= numRows(16) * bpe
s_add_u32  s[sgprSrdD+0], s[sgprSrdD+0], s54       // incToNextRow: gra SRD += inc(lower)
s_addc_u32  s[sgprSrdD+1], s[sgprSrdD+1], 0        // incToNextRow: gra SRD += inc(upper)
	;; [unrolled: 5-line block ×7, first 2 shown]
_buffer_store_b128 v[128:131], v70, s[sgprSrdD:sgprSrdD+3], 0, offen, offset:0,  sc0 sc1 // store D
_buffer_store_b128 v[132:135], v70, s[sgprSrdD:sgprSrdD+3], 0, offen, offset:256,  sc0 sc1 // store D
s_nop 0                                            // 1 wait state required when next inst writes vgprs held by previous dwordx4 store inst
s_branch label_GW_End_27                           // jump to end
label_GW_End_27:

s_endpgm                                           // Kernel End
OptNLL_End_19:


/******************************************/
/* Ord. NoLoadLoop - Begin                                      */
/******************************************/


s_and_b32 s53, s[sgprOrigLoopCounter], 1           // test if OrigLoopCounter is Odd ?
s_cbranch_scc0 label_0032                          // Skip odd code if OrigLoopCounter is Even


	;; [unrolled: 1-line block ×3, first 2 shown]
/* iter 0 (last unrolled loop) */

s_waitcnt vmcnt(14)                                // lgkmcnt=-1 vmcnt=14global read wait for DirectToVgpr

/*  grEndMfmaIndex:0, lwStartMfmaIndex:111, lwEndMfmaIndex:111  */
/*  numMfmaForLR:6, barrierMfmaIndex:121, LocalWritePerMfma:0.165 */
/*  mfmaIndex:0  */
s_waitcnt lgkmcnt(0)                               // lgkmcnt=0 vmcnt=-1wait for prior local read local write old=0, new=0 newLW=0 newLR=0
v_mfma_f32_16x16x4_f32 v[0+0:3+0], v[vgprG2LA+0+0], v[vgprValuB_X0_I0+0+0+0], v[0:3]
/*  mfmaIndex:1  */
_ds_load_b32 v[vgprValuB_X1_I0+0], v[vgprLocalReadAddrB] offset:2304 // L -> Reg lro=576 swapByteOffset=0 ti=16 vIdx=0 rIdx=0 oIdx=0 buffer=1 iui=0
_ds_load_b32 v[vgprValuB_X1_I0+1], v[vgprLocalReadAddrB] offset:2368 // L -> Reg lro=576 swapByteOffset=0 ti=16 vIdx=1 rIdx=0 oIdx=0 buffer=1 iui=0
v_mfma_f32_16x16x4_f32 v[8+0:11+0], v[vgprG2LA+0+0], v[vgprValuB_X0_I0+1+0+0], v[8:11]
/*  mfmaIndex:2  */
_ds_load_b32 v[vgprValuB_X1_I0+2], v[vgprLocalReadAddrB] offset:2432 // L -> Reg lro=576 swapByteOffset=0 ti=16 vIdx=2 rIdx=0 oIdx=0 buffer=1 iui=0
_ds_load_b32 v[vgprValuB_X1_I0+3], v[vgprLocalReadAddrB] offset:2496 // L -> Reg lro=576 swapByteOffset=0 ti=16 vIdx=3 rIdx=0 oIdx=0 buffer=1 iui=0
	;; [unrolled: 4-line block ×4, first 2 shown]
/* localReadsVacancy: latencyLeft 1 */
v_mfma_f32_16x16x4_f32 v[32+0:35+0], v[vgprG2LA+0+0], v[vgprValuB_X0_I0+4+0+0], v[32:35]
/*  mfmaIndex:5  */
/* localReadsVacancy: latencyLeft 5 */
_ds_load_b32 v[vgprValuB_X2_I0+0], v[vgprLocalReadAddrB] offset:4608 // L -> Reg lro=1152 swapByteOffset=0 ti=16 vIdx=0 rIdx=0 oIdx=0 buffer=2 iui=0
_ds_load_b32 v[vgprValuB_X2_I0+1], v[vgprLocalReadAddrB] offset:4672 // L -> Reg lro=1152 swapByteOffset=0 ti=16 vIdx=1 rIdx=0 oIdx=0 buffer=2 iui=0
v_mfma_f32_16x16x4_f32 v[40+0:43+0], v[vgprG2LA+0+0], v[vgprValuB_X0_I0+5+0+0], v[40:43]
/*  mfmaIndex:6  */
/* localReadsVacancy: latencyLeft 5 */
_ds_load_b32 v[vgprValuB_X2_I0+2], v[vgprLocalReadAddrB] offset:4736 // L -> Reg lro=1152 swapByteOffset=0 ti=16 vIdx=2 rIdx=0 oIdx=0 buffer=2 iui=0
_ds_load_b32 v[vgprValuB_X2_I0+3], v[vgprLocalReadAddrB] offset:4800 // L -> Reg lro=1152 swapByteOffset=0 ti=16 vIdx=3 rIdx=0 oIdx=0 buffer=2 iui=0
	;; [unrolled: 5-line block ×4, first 2 shown]
v_mfma_f32_16x16x4_f32 v[60+0:63+0], v[vgprG2LA+1+0], v[vgprValuB_X0_I0+7+0+0], v[60:63]
/*  mfmaIndex:9  */
/* localReadsVacancy: latencyLeft 5 */
_ds_load_b32 v[vgprValuB_X3_I0+0], v[vgprLocalReadAddrB] offset:6912 // L -> Reg lro=1728 swapByteOffset=0 ti=16 vIdx=0 rIdx=0 oIdx=0 buffer=3 iui=0
_ds_load_b32 v[vgprValuB_X3_I0+1], v[vgprLocalReadAddrB] offset:6976 // L -> Reg lro=1728 swapByteOffset=0 ti=16 vIdx=1 rIdx=0 oIdx=0 buffer=3 iui=0
v_mfma_f32_16x16x4_f32 v[52+0:55+0], v[vgprG2LA+1+0], v[vgprValuB_X0_I0+6+0+0], v[52:55]
/*  mfmaIndex:10  */
/* localReadsVacancy: latencyLeft 5 */
_ds_load_b32 v[vgprValuB_X3_I0+2], v[vgprLocalReadAddrB] offset:7040 // L -> Reg lro=1728 swapByteOffset=0 ti=16 vIdx=2 rIdx=0 oIdx=0 buffer=3 iui=0
_ds_load_b32 v[vgprValuB_X3_I0+3], v[vgprLocalReadAddrB] offset:7104 // L -> Reg lro=1728 swapByteOffset=0 ti=16 vIdx=3 rIdx=0 oIdx=0 buffer=3 iui=0
	;; [unrolled: 5-line block ×4, first 2 shown]
v_mfma_f32_16x16x4_f32 v[28+0:31+0], v[vgprG2LA+1+0], v[vgprValuB_X0_I0+3+0+0], v[28:31]
/*  mfmaIndex:13  */
/* localReadsVacancy: latencyLeft 5 */
_ds_load_b32 v[vgprValuB_X4_I0+0], v[vgprLocalReadAddrB] offset:9216 // L -> Reg lro=2304 swapByteOffset=0 ti=16 vIdx=0 rIdx=0 oIdx=0 buffer=4 iui=0
_ds_load_b32 v[vgprValuB_X4_I0+1], v[vgprLocalReadAddrB] offset:9280 // L -> Reg lro=2304 swapByteOffset=0 ti=16 vIdx=1 rIdx=0 oIdx=0 buffer=4 iui=0
v_mfma_f32_16x16x4_f32 v[20+0:23+0], v[vgprG2LA+1+0], v[vgprValuB_X0_I0+2+0+0], v[20:23]
/*  mfmaIndex:14  */
/* localReadsVacancy: latencyLeft 5 */
_ds_load_b32 v[vgprValuB_X4_I0+2], v[vgprLocalReadAddrB] offset:9344 // L -> Reg lro=2304 swapByteOffset=0 ti=16 vIdx=2 rIdx=0 oIdx=0 buffer=4 iui=0
_ds_load_b32 v[vgprValuB_X4_I0+3], v[vgprLocalReadAddrB] offset:9408 // L -> Reg lro=2304 swapByteOffset=0 ti=16 vIdx=3 rIdx=0 oIdx=0 buffer=4 iui=0
	;; [unrolled: 5-line block ×3, first 2 shown]
v_mfma_f32_16x16x4_f32 v[4+0:7+0], v[vgprG2LA+1+0], v[vgprValuB_X0_I0+0+0+0], v[4:7]
/* numPrefetchIter=0 */
/* dataAtIterA=-1 numReadsIterA=1 skipReadsIterA=1 readsPerIterA=2 */
/* dataAtIterB=-1 numReadsIterB=1 skipReadsIterB=1 readsPerIterB=8 */


/* iter 1 (last unrolled loop) */

s_waitcnt vmcnt(12)                                // lgkmcnt=-1 vmcnt=12global read wait for DirectToVgpr

/*  grEndMfmaIndex:0, lwStartMfmaIndex:111, lwEndMfmaIndex:111  */
/*  numMfmaForLR:6, barrierMfmaIndex:121, LocalWritePerMfma:0.165 */
/*  mfmaIndex:16  */
/* localReadsVacancy: latencyLeft 5 */
_ds_load_b32 v[vgprValuB_X4_I0+6], v[vgprLocalReadAddrB] offset:9600 // L -> Reg lro=2304 swapByteOffset=0 ti=16 vIdx=6 rIdx=0 oIdx=0 buffer=4 iui=0
_ds_load_b32 v[vgprValuB_X4_I0+7], v[vgprLocalReadAddrB] offset:9664 // L -> Reg lro=2304 swapByteOffset=0 ti=16 vIdx=7 rIdx=0 oIdx=0 buffer=4 iui=0
s_waitcnt lgkmcnt(15)                              // lgkmcnt=0 vmcnt=-1wait for prior local read local write old=8, new=8 newLW=0 newLR=0
v_mfma_f32_16x16x4_f32 v[0+0:3+0], v[vgprG2LA+2+0], v[vgprValuB_X1_I0+0+0+0], v[0:3]
/*  mfmaIndex:17  */
/* localReadsVacancy: latencyLeft 5 */
_ds_load_b32 v[vgprValuB_X5_I0+0], v[vgprLocalReadAddrB] offset:11520 // L -> Reg lro=2880 swapByteOffset=0 ti=16 vIdx=0 rIdx=0 oIdx=0 buffer=5 iui=0
_ds_load_b32 v[vgprValuB_X5_I0+1], v[vgprLocalReadAddrB] offset:11584 // L -> Reg lro=2880 swapByteOffset=0 ti=16 vIdx=1 rIdx=0 oIdx=0 buffer=5 iui=0
v_mfma_f32_16x16x4_f32 v[8+0:11+0], v[vgprG2LA+2+0], v[vgprValuB_X1_I0+1+0+0], v[8:11]
/*  mfmaIndex:18  */
/* localReadsVacancy: latencyLeft 5 */
_ds_load_b32 v[vgprValuB_X5_I0+2], v[vgprLocalReadAddrB] offset:11648 // L -> Reg lro=2880 swapByteOffset=0 ti=16 vIdx=2 rIdx=0 oIdx=0 buffer=5 iui=0
_ds_load_b32 v[vgprValuB_X5_I0+3], v[vgprLocalReadAddrB] offset:11712 // L -> Reg lro=2880 swapByteOffset=0 ti=16 vIdx=3 rIdx=0 oIdx=0 buffer=5 iui=0
	;; [unrolled: 5-line block ×4, first 2 shown]
v_mfma_f32_16x16x4_f32 v[32+0:35+0], v[vgprG2LA+2+0], v[vgprValuB_X1_I0+4+0+0], v[32:35]
/*  mfmaIndex:21  */
/* localReadsVacancy: latencyLeft 5 */
_ds_load_b32 v[vgprValuB_X6_I0+0], v[vgprLocalReadAddrB] offset:13824 // L -> Reg lro=3456 swapByteOffset=0 ti=16 vIdx=0 rIdx=0 oIdx=0 buffer=6 iui=0
_ds_load_b32 v[vgprValuB_X6_I0+1], v[vgprLocalReadAddrB] offset:13888 // L -> Reg lro=3456 swapByteOffset=0 ti=16 vIdx=1 rIdx=0 oIdx=0 buffer=6 iui=0
v_mfma_f32_16x16x4_f32 v[40+0:43+0], v[vgprG2LA+2+0], v[vgprValuB_X1_I0+5+0+0], v[40:43]
/*  mfmaIndex:22  */
/* localReadsVacancy: latencyLeft 5 */
_ds_load_b32 v[vgprValuB_X6_I0+2], v[vgprLocalReadAddrB] offset:13952 // L -> Reg lro=3456 swapByteOffset=0 ti=16 vIdx=2 rIdx=0 oIdx=0 buffer=6 iui=0
_ds_load_b32 v[vgprValuB_X6_I0+3], v[vgprLocalReadAddrB] offset:14016 // L -> Reg lro=3456 swapByteOffset=0 ti=16 vIdx=3 rIdx=0 oIdx=0 buffer=6 iui=0
v_mfma_f32_16x16x4_f32 v[48+0:51+0], v[vgprG2LA+2+0], v[vgprValuB_X1_I0+6+0+0], v[48:51]
/*  mfmaIndex:23  */
/* localReadsVacancy: latencyLeft 5 */
_ds_load_b32 v[vgprValuB_X6_I0+4], v[vgprLocalReadAddrB] offset:14080 // L -> Reg lro=3456 swapByteOffset=0 ti=16 vIdx=4 rIdx=0 oIdx=0 buffer=6 iui=0
_ds_load_b32 v[vgprValuB_X6_I0+5], v[vgprLocalReadAddrB] offset:14144 // L -> Reg lro=3456 swapByteOffset=0 ti=16 vIdx=5 rIdx=0 oIdx=0 buffer=6 iui=0
v_mfma_f32_16x16x4_f32 v[56+0:59+0], v[vgprG2LA+2+0], v[vgprValuB_X1_I0+7+0+0], v[56:59]
/*  mfmaIndex:24  */
/* localReadsVacancy: latencyLeft 5 */
_ds_load_b32 v[vgprValuB_X6_I0+6], v[vgprLocalReadAddrB] offset:14208 // L -> Reg lro=3456 swapByteOffset=0 ti=16 vIdx=6 rIdx=0 oIdx=0 buffer=6 iui=0
_ds_load_b32 v[vgprValuB_X6_I0+7], v[vgprLocalReadAddrB] offset:14272 // L -> Reg lro=3456 swapByteOffset=0 ti=16 vIdx=7 rIdx=0 oIdx=0 buffer=6 iui=0
v_mfma_f32_16x16x4_f32 v[60+0:63+0], v[vgprG2LA+3+0], v[vgprValuB_X1_I0+7+0+0], v[60:63]
/*  mfmaIndex:25  */
/* localReadsVacancy: latencyLeft 5 */
_ds_load_b32 v[vgprValuB_X7_I0+0], v[vgprLocalReadAddrB] offset:16128 // L -> Reg lro=4032 swapByteOffset=0 ti=16 vIdx=0 rIdx=0 oIdx=0 buffer=7 iui=0
_ds_load_b32 v[vgprValuB_X7_I0+1], v[vgprLocalReadAddrB] offset:16192 // L -> Reg lro=4032 swapByteOffset=0 ti=16 vIdx=1 rIdx=0 oIdx=0 buffer=7 iui=0
v_mfma_f32_16x16x4_f32 v[52+0:55+0], v[vgprG2LA+3+0], v[vgprValuB_X1_I0+6+0+0], v[52:55]
/*  mfmaIndex:26  */
/* localReadsVacancy: latencyLeft 5 */
_ds_load_b32 v[vgprValuB_X7_I0+2], v[vgprLocalReadAddrB] offset:16256 // L -> Reg lro=4032 swapByteOffset=0 ti=16 vIdx=2 rIdx=0 oIdx=0 buffer=7 iui=0
_ds_load_b32 v[vgprValuB_X7_I0+3], v[vgprLocalReadAddrB] offset:16320 // L -> Reg lro=4032 swapByteOffset=0 ti=16 vIdx=3 rIdx=0 oIdx=0 buffer=7 iui=0
	;; [unrolled: 5-line block ×4, first 2 shown]
v_mfma_f32_16x16x4_f32 v[28+0:31+0], v[vgprG2LA+3+0], v[vgprValuB_X1_I0+3+0+0], v[28:31]
/*  mfmaIndex:29  */
/* localReadsVacancy: latencyLeft 5 */
v_mfma_f32_16x16x4_f32 v[20+0:23+0], v[vgprG2LA+3+0], v[vgprValuB_X1_I0+2+0+0], v[20:23]
/*  mfmaIndex:30  */
/* localReadsVacancy: latencyLeft 5 */
	;; [unrolled: 3-line block ×3, first 2 shown]
v_mfma_f32_16x16x4_f32 v[4+0:7+0], v[vgprG2LA+3+0], v[vgprValuB_X1_I0+0+0+0], v[4:7]
/* numPrefetchIter=0 */
/* dataAtIterA=0 numReadsIterA=2 skipReadsIterA=1 readsPerIterA=2 */
/* dataAtIterB=0 numReadsIterB=2 skipReadsIterB=1 readsPerIterB=8 */


/* iter 2 (last unrolled loop) */

s_waitcnt vmcnt(10)                                // lgkmcnt=-1 vmcnt=10global read wait for DirectToVgpr

/*  grEndMfmaIndex:0, lwStartMfmaIndex:111, lwEndMfmaIndex:111  */
/*  numMfmaForLR:6, barrierMfmaIndex:121, LocalWritePerMfma:0.165 */
/*  mfmaIndex:32  */
/* localReadsVacancy: latencyLeft 5 */
s_waitcnt lgkmcnt(15)                              // lgkmcnt=0 vmcnt=-1wait for prior local read local write old=0, new=0 newLW=0 newLR=0
v_mfma_f32_16x16x4_f32 v[0+0:3+0], v[vgprG2LA+4+0], v[vgprValuB_X2_I0+0+0+0], v[0:3]
/*  mfmaIndex:33  */
/* localReadsVacancy: latencyLeft 5 */
v_mfma_f32_16x16x4_f32 v[8+0:11+0], v[vgprG2LA+4+0], v[vgprValuB_X2_I0+1+0+0], v[8:11]
/*  mfmaIndex:34  */
/* localReadsVacancy: latencyLeft 5 */
	;; [unrolled: 3-line block ×15, first 2 shown]
v_mfma_f32_16x16x4_f32 v[4+0:7+0], v[vgprG2LA+5+0], v[vgprValuB_X2_I0+0+0+0], v[4:7]
/* numPrefetchIter=0 */
/* dataAtIterA=1 numReadsIterA=3 skipReadsIterA=1 readsPerIterA=2 */
/* dataAtIterB=1 numReadsIterB=3 skipReadsIterB=1 readsPerIterB=8 */


/* iter 3 (last unrolled loop) */

s_waitcnt vmcnt(8)                                 // lgkmcnt=-1 vmcnt=8global read wait for DirectToVgpr

/*  grEndMfmaIndex:0, lwStartMfmaIndex:111, lwEndMfmaIndex:111  */
/*  numMfmaForLR:6, barrierMfmaIndex:121, LocalWritePerMfma:0.165 */
/*  mfmaIndex:48  */
/* localReadsVacancy: latencyLeft 5 */
s_waitcnt lgkmcnt(15)                              // lgkmcnt=0 vmcnt=-1wait for prior local read local write old=2, new=2 newLW=0 newLR=0
v_mfma_f32_16x16x4_f32 v[0+0:3+0], v[vgprG2LA+6+0], v[vgprValuB_X3_I0+0+0+0], v[0:3]
/*  mfmaIndex:49  */
/* localReadsVacancy: latencyLeft 5 */
v_mfma_f32_16x16x4_f32 v[8+0:11+0], v[vgprG2LA+6+0], v[vgprValuB_X3_I0+1+0+0], v[8:11]
/*  mfmaIndex:50  */
/* localReadsVacancy: latencyLeft 5 */
	;; [unrolled: 3-line block ×15, first 2 shown]
v_mfma_f32_16x16x4_f32 v[4+0:7+0], v[vgprG2LA+7+0], v[vgprValuB_X3_I0+0+0+0], v[4:7]
/* numPrefetchIter=0 */
/* dataAtIterA=2 numReadsIterA=4 skipReadsIterA=1 readsPerIterA=2 */
/* dataAtIterB=2 numReadsIterB=4 skipReadsIterB=1 readsPerIterB=8 */


/* iter 4 (last unrolled loop) */

s_waitcnt vmcnt(6)                                 // lgkmcnt=-1 vmcnt=6global read wait for DirectToVgpr

/*  grEndMfmaIndex:0, lwStartMfmaIndex:111, lwEndMfmaIndex:111  */
/*  numMfmaForLR:6, barrierMfmaIndex:121, LocalWritePerMfma:0.165 */
/*  mfmaIndex:64  */
/* localReadsVacancy: latencyLeft 5 */
s_waitcnt lgkmcnt(15)                              // lgkmcnt=0 vmcnt=-1wait for prior local read local write old=8, new=8 newLW=0 newLR=0
v_mfma_f32_16x16x4_f32 v[0+0:3+0], v[vgprG2LA+8+0], v[vgprValuB_X4_I0+0+0+0], v[0:3]
/*  mfmaIndex:65  */
/* localReadsVacancy: latencyLeft 5 */
v_mfma_f32_16x16x4_f32 v[8+0:11+0], v[vgprG2LA+8+0], v[vgprValuB_X4_I0+1+0+0], v[8:11]
/*  mfmaIndex:66  */
/* localReadsVacancy: latencyLeft 5 */
	;; [unrolled: 3-line block ×15, first 2 shown]
v_mfma_f32_16x16x4_f32 v[4+0:7+0], v[vgprG2LA+9+0], v[vgprValuB_X4_I0+0+0+0], v[4:7]
/* numPrefetchIter=0 */
/* dataAtIterA=3 numReadsIterA=5 skipReadsIterA=1 readsPerIterA=2 */
/* dataAtIterB=3 numReadsIterB=5 skipReadsIterB=1 readsPerIterB=8 */


/* iter 5 (last unrolled loop) */

s_waitcnt vmcnt(4)                                 // lgkmcnt=-1 vmcnt=4global read wait for DirectToVgpr

/*  grEndMfmaIndex:0, lwStartMfmaIndex:111, lwEndMfmaIndex:111  */
/*  numMfmaForLR:6, barrierMfmaIndex:121, LocalWritePerMfma:0.165 */
/*  mfmaIndex:80  */
/* localReadsVacancy: latencyLeft 5 */
s_waitcnt lgkmcnt(15)                              // lgkmcnt=0 vmcnt=-1wait for prior local read local write old=8, new=8 newLW=0 newLR=0
v_mfma_f32_16x16x4_f32 v[0+0:3+0], v[vgprG2LA+10+0], v[vgprValuB_X5_I0+0+0+0], v[0:3]
/*  mfmaIndex:81  */
/* localReadsVacancy: latencyLeft 5 */
v_mfma_f32_16x16x4_f32 v[8+0:11+0], v[vgprG2LA+10+0], v[vgprValuB_X5_I0+1+0+0], v[8:11]
/*  mfmaIndex:82  */
/* localReadsVacancy: latencyLeft 5 */
	;; [unrolled: 3-line block ×15, first 2 shown]
v_mfma_f32_16x16x4_f32 v[4+0:7+0], v[vgprG2LA+11+0], v[vgprValuB_X5_I0+0+0+0], v[4:7]
/* numPrefetchIter=0 */
/* dataAtIterA=4 numReadsIterA=6 skipReadsIterA=1 readsPerIterA=2 */
/* dataAtIterB=4 numReadsIterB=6 skipReadsIterB=1 readsPerIterB=8 */


/* iter 6 (last unrolled loop) */

s_waitcnt vmcnt(2)                                 // lgkmcnt=-1 vmcnt=2global read wait for DirectToVgpr

/*  grEndMfmaIndex:0, lwStartMfmaIndex:111, lwEndMfmaIndex:111  */
/*  numMfmaForLR:6, barrierMfmaIndex:121, LocalWritePerMfma:0.165 */
/*  mfmaIndex:96  */
/* localReadsVacancy: latencyLeft 5 */
s_waitcnt lgkmcnt(8)                               // lgkmcnt=0 vmcnt=-1wait for prior local read local write old=8, new=8 newLW=0 newLR=0
v_mfma_f32_16x16x4_f32 v[0+0:3+0], v[vgprG2LA+12+0], v[vgprValuB_X6_I0+0+0+0], v[0:3]
/*  mfmaIndex:97  */
/* localReadsVacancy: latencyLeft 5 */
v_mfma_f32_16x16x4_f32 v[8+0:11+0], v[vgprG2LA+12+0], v[vgprValuB_X6_I0+1+0+0], v[8:11]
/*  mfmaIndex:98  */
/* localReadsVacancy: latencyLeft 5 */
	;; [unrolled: 3-line block ×14, first 2 shown]
/* 1 LDS buffer: read-sync-write */
s_waitcnt lgkmcnt(0)                               // 
s_barrier                                          // 
v_mfma_f32_16x16x4_f32 v[12+0:15+0], v[vgprG2LA+13+0], v[vgprValuB_X6_I0+1+0+0], v[12:15]
/*  mfmaIndex:111  */
/* localReadsVacancy: latencyLeft 5 */
s_setprio 3                                        // store optimization
v_mfma_f32_16x16x4_f32 v[4+0:7+0], v[vgprG2LA+13+0], v[vgprValuB_X6_I0+0+0+0], v[4:7]
/* numPrefetchIter=0 */
/* dataAtIterA=5 numReadsIterA=7 skipReadsIterA=1 readsPerIterA=2 */
/* dataAtIterB=5 numReadsIterB=7 skipReadsIterB=1 readsPerIterB=8 */


/* iter 7 (last unrolled loop) */

s_waitcnt vmcnt(0)                                 // lgkmcnt=-1 vmcnt=0global read wait for DirectToVgpr

/*  grEndMfmaIndex:0, lwStartMfmaIndex:111, lwEndMfmaIndex:111  */
/*  numMfmaForLR:6, barrierMfmaIndex:121, LocalWritePerMfma:0.165 */
/*  mfmaIndex:112  */
v_mfma_f32_16x16x4_f32 v[0+0:3+0], v[vgprG2LA+14+0], v[vgprValuB_X7_I0+0+0+0], v[0:3]
/*  mfmaIndex:113  */
v_mfma_f32_16x16x4_f32 v[8+0:11+0], v[vgprG2LA+14+0], v[vgprValuB_X7_I0+1+0+0], v[8:11]
	;; [unrolled: 2-line block ×9, first 2 shown]
s_setprio 0                                        // store optimization
/*  mfmaIndex:121  */
v_mfma_f32_16x16x4_f32 v[12+0:15+0], v[vgprG2LA+15+0], v[vgprValuB_X7_I0+1+0+0], v[12:15]
/*  mfmaIndex:122  */
s_setprio 3                                        // store optimization
v_mfma_f32_16x16x4_f32 v[20+0:23+0], v[vgprG2LA+15+0], v[vgprValuB_X7_I0+2+0+0], v[20:23]
/*  mfmaIndex:123  */
v_mfma_f32_16x16x4_f32 v[28+0:31+0], v[vgprG2LA+15+0], v[vgprValuB_X7_I0+3+0+0], v[28:31]
/*  mfmaIndex:124  */
	;; [unrolled: 2-line block ×5, first 2 shown]
v_mfma_f32_16x16x4_f32 v[60+0:63+0], v[vgprG2LA+15+0], v[vgprValuB_X7_I0+7+0+0], v[60:63]

s_branch label_0033                                // Skip even code
label_0032: // EvenStartNoLoadLoopOrd 


	;; [unrolled: 1-line block ×3, first 2 shown]
/* iter 0 (last unrolled loop) */

s_waitcnt vmcnt(14)                                // lgkmcnt=-1 vmcnt=14global read wait for DirectToVgpr

/*  grEndMfmaIndex:0, lwStartMfmaIndex:111, lwEndMfmaIndex:111  */
/*  numMfmaForLR:6, barrierMfmaIndex:121, LocalWritePerMfma:0.165 */
/*  mfmaIndex:0  */
s_waitcnt lgkmcnt(0)                               // lgkmcnt=0 vmcnt=-1wait for prior local read local write old=0, new=0 newLW=0 newLR=0
v_mfma_f32_16x16x4_f32 v[0+0:3+0], v[vgprG2LA+16+0], v[vgprValuB_X0_I0+0+0+0], v[0:3]
/*  mfmaIndex:1  */
_ds_load_b32 v[vgprValuB_X1_I0+0], v[vgprLocalReadAddrB] offset:2304 // L -> Reg lro=576 swapByteOffset=0 ti=16 vIdx=0 rIdx=0 oIdx=0 buffer=1 iui=0
_ds_load_b32 v[vgprValuB_X1_I0+1], v[vgprLocalReadAddrB] offset:2368 // L -> Reg lro=576 swapByteOffset=0 ti=16 vIdx=1 rIdx=0 oIdx=0 buffer=1 iui=0
v_mfma_f32_16x16x4_f32 v[8+0:11+0], v[vgprG2LA+16+0], v[vgprValuB_X0_I0+1+0+0], v[8:11]
/*  mfmaIndex:2  */
_ds_load_b32 v[vgprValuB_X1_I0+2], v[vgprLocalReadAddrB] offset:2432 // L -> Reg lro=576 swapByteOffset=0 ti=16 vIdx=2 rIdx=0 oIdx=0 buffer=1 iui=0
_ds_load_b32 v[vgprValuB_X1_I0+3], v[vgprLocalReadAddrB] offset:2496 // L -> Reg lro=576 swapByteOffset=0 ti=16 vIdx=3 rIdx=0 oIdx=0 buffer=1 iui=0
	;; [unrolled: 4-line block ×4, first 2 shown]
/* localReadsVacancy: latencyLeft 1 */
v_mfma_f32_16x16x4_f32 v[32+0:35+0], v[vgprG2LA+16+0], v[vgprValuB_X0_I0+4+0+0], v[32:35]
/*  mfmaIndex:5  */
/* localReadsVacancy: latencyLeft 5 */
_ds_load_b32 v[vgprValuB_X2_I0+0], v[vgprLocalReadAddrB] offset:4608 // L -> Reg lro=1152 swapByteOffset=0 ti=16 vIdx=0 rIdx=0 oIdx=0 buffer=2 iui=0
_ds_load_b32 v[vgprValuB_X2_I0+1], v[vgprLocalReadAddrB] offset:4672 // L -> Reg lro=1152 swapByteOffset=0 ti=16 vIdx=1 rIdx=0 oIdx=0 buffer=2 iui=0
v_mfma_f32_16x16x4_f32 v[40+0:43+0], v[vgprG2LA+16+0], v[vgprValuB_X0_I0+5+0+0], v[40:43]
/*  mfmaIndex:6  */
/* localReadsVacancy: latencyLeft 5 */
_ds_load_b32 v[vgprValuB_X2_I0+2], v[vgprLocalReadAddrB] offset:4736 // L -> Reg lro=1152 swapByteOffset=0 ti=16 vIdx=2 rIdx=0 oIdx=0 buffer=2 iui=0
_ds_load_b32 v[vgprValuB_X2_I0+3], v[vgprLocalReadAddrB] offset:4800 // L -> Reg lro=1152 swapByteOffset=0 ti=16 vIdx=3 rIdx=0 oIdx=0 buffer=2 iui=0
	;; [unrolled: 5-line block ×4, first 2 shown]
v_mfma_f32_16x16x4_f32 v[60+0:63+0], v[vgprG2LA+17+0], v[vgprValuB_X0_I0+7+0+0], v[60:63]
/*  mfmaIndex:9  */
/* localReadsVacancy: latencyLeft 5 */
_ds_load_b32 v[vgprValuB_X3_I0+0], v[vgprLocalReadAddrB] offset:6912 // L -> Reg lro=1728 swapByteOffset=0 ti=16 vIdx=0 rIdx=0 oIdx=0 buffer=3 iui=0
_ds_load_b32 v[vgprValuB_X3_I0+1], v[vgprLocalReadAddrB] offset:6976 // L -> Reg lro=1728 swapByteOffset=0 ti=16 vIdx=1 rIdx=0 oIdx=0 buffer=3 iui=0
v_mfma_f32_16x16x4_f32 v[52+0:55+0], v[vgprG2LA+17+0], v[vgprValuB_X0_I0+6+0+0], v[52:55]
/*  mfmaIndex:10  */
/* localReadsVacancy: latencyLeft 5 */
_ds_load_b32 v[vgprValuB_X3_I0+2], v[vgprLocalReadAddrB] offset:7040 // L -> Reg lro=1728 swapByteOffset=0 ti=16 vIdx=2 rIdx=0 oIdx=0 buffer=3 iui=0
_ds_load_b32 v[vgprValuB_X3_I0+3], v[vgprLocalReadAddrB] offset:7104 // L -> Reg lro=1728 swapByteOffset=0 ti=16 vIdx=3 rIdx=0 oIdx=0 buffer=3 iui=0
	;; [unrolled: 5-line block ×4, first 2 shown]
v_mfma_f32_16x16x4_f32 v[28+0:31+0], v[vgprG2LA+17+0], v[vgprValuB_X0_I0+3+0+0], v[28:31]
/*  mfmaIndex:13  */
/* localReadsVacancy: latencyLeft 5 */
_ds_load_b32 v[vgprValuB_X4_I0+0], v[vgprLocalReadAddrB] offset:9216 // L -> Reg lro=2304 swapByteOffset=0 ti=16 vIdx=0 rIdx=0 oIdx=0 buffer=4 iui=0
_ds_load_b32 v[vgprValuB_X4_I0+1], v[vgprLocalReadAddrB] offset:9280 // L -> Reg lro=2304 swapByteOffset=0 ti=16 vIdx=1 rIdx=0 oIdx=0 buffer=4 iui=0
v_mfma_f32_16x16x4_f32 v[20+0:23+0], v[vgprG2LA+17+0], v[vgprValuB_X0_I0+2+0+0], v[20:23]
/*  mfmaIndex:14  */
/* localReadsVacancy: latencyLeft 5 */
_ds_load_b32 v[vgprValuB_X4_I0+2], v[vgprLocalReadAddrB] offset:9344 // L -> Reg lro=2304 swapByteOffset=0 ti=16 vIdx=2 rIdx=0 oIdx=0 buffer=4 iui=0
_ds_load_b32 v[vgprValuB_X4_I0+3], v[vgprLocalReadAddrB] offset:9408 // L -> Reg lro=2304 swapByteOffset=0 ti=16 vIdx=3 rIdx=0 oIdx=0 buffer=4 iui=0
	;; [unrolled: 5-line block ×3, first 2 shown]
v_mfma_f32_16x16x4_f32 v[4+0:7+0], v[vgprG2LA+17+0], v[vgprValuB_X0_I0+0+0+0], v[4:7]
/* numPrefetchIter=0 */
/* dataAtIterA=-1 numReadsIterA=1 skipReadsIterA=1 readsPerIterA=2 */
/* dataAtIterB=-1 numReadsIterB=1 skipReadsIterB=1 readsPerIterB=8 */


/* iter 1 (last unrolled loop) */

s_waitcnt vmcnt(12)                                // lgkmcnt=-1 vmcnt=12global read wait for DirectToVgpr

/*  grEndMfmaIndex:0, lwStartMfmaIndex:111, lwEndMfmaIndex:111  */
/*  numMfmaForLR:6, barrierMfmaIndex:121, LocalWritePerMfma:0.165 */
/*  mfmaIndex:16  */
/* localReadsVacancy: latencyLeft 5 */
_ds_load_b32 v[vgprValuB_X4_I0+6], v[vgprLocalReadAddrB] offset:9600 // L -> Reg lro=2304 swapByteOffset=0 ti=16 vIdx=6 rIdx=0 oIdx=0 buffer=4 iui=0
_ds_load_b32 v[vgprValuB_X4_I0+7], v[vgprLocalReadAddrB] offset:9664 // L -> Reg lro=2304 swapByteOffset=0 ti=16 vIdx=7 rIdx=0 oIdx=0 buffer=4 iui=0
s_waitcnt lgkmcnt(15)                              // lgkmcnt=0 vmcnt=-1wait for prior local read local write old=8, new=8 newLW=0 newLR=0
v_mfma_f32_16x16x4_f32 v[0+0:3+0], v[vgprG2LA+18+0], v[vgprValuB_X1_I0+0+0+0], v[0:3]
/*  mfmaIndex:17  */
/* localReadsVacancy: latencyLeft 5 */
_ds_load_b32 v[vgprValuB_X5_I0+0], v[vgprLocalReadAddrB] offset:11520 // L -> Reg lro=2880 swapByteOffset=0 ti=16 vIdx=0 rIdx=0 oIdx=0 buffer=5 iui=0
_ds_load_b32 v[vgprValuB_X5_I0+1], v[vgprLocalReadAddrB] offset:11584 // L -> Reg lro=2880 swapByteOffset=0 ti=16 vIdx=1 rIdx=0 oIdx=0 buffer=5 iui=0
v_mfma_f32_16x16x4_f32 v[8+0:11+0], v[vgprG2LA+18+0], v[vgprValuB_X1_I0+1+0+0], v[8:11]
/*  mfmaIndex:18  */
/* localReadsVacancy: latencyLeft 5 */
_ds_load_b32 v[vgprValuB_X5_I0+2], v[vgprLocalReadAddrB] offset:11648 // L -> Reg lro=2880 swapByteOffset=0 ti=16 vIdx=2 rIdx=0 oIdx=0 buffer=5 iui=0
_ds_load_b32 v[vgprValuB_X5_I0+3], v[vgprLocalReadAddrB] offset:11712 // L -> Reg lro=2880 swapByteOffset=0 ti=16 vIdx=3 rIdx=0 oIdx=0 buffer=5 iui=0
	;; [unrolled: 5-line block ×4, first 2 shown]
v_mfma_f32_16x16x4_f32 v[32+0:35+0], v[vgprG2LA+18+0], v[vgprValuB_X1_I0+4+0+0], v[32:35]
/*  mfmaIndex:21  */
/* localReadsVacancy: latencyLeft 5 */
_ds_load_b32 v[vgprValuB_X6_I0+0], v[vgprLocalReadAddrB] offset:13824 // L -> Reg lro=3456 swapByteOffset=0 ti=16 vIdx=0 rIdx=0 oIdx=0 buffer=6 iui=0
_ds_load_b32 v[vgprValuB_X6_I0+1], v[vgprLocalReadAddrB] offset:13888 // L -> Reg lro=3456 swapByteOffset=0 ti=16 vIdx=1 rIdx=0 oIdx=0 buffer=6 iui=0
v_mfma_f32_16x16x4_f32 v[40+0:43+0], v[vgprG2LA+18+0], v[vgprValuB_X1_I0+5+0+0], v[40:43]
/*  mfmaIndex:22  */
/* localReadsVacancy: latencyLeft 5 */
_ds_load_b32 v[vgprValuB_X6_I0+2], v[vgprLocalReadAddrB] offset:13952 // L -> Reg lro=3456 swapByteOffset=0 ti=16 vIdx=2 rIdx=0 oIdx=0 buffer=6 iui=0
_ds_load_b32 v[vgprValuB_X6_I0+3], v[vgprLocalReadAddrB] offset:14016 // L -> Reg lro=3456 swapByteOffset=0 ti=16 vIdx=3 rIdx=0 oIdx=0 buffer=6 iui=0
	;; [unrolled: 5-line block ×4, first 2 shown]
v_mfma_f32_16x16x4_f32 v[60+0:63+0], v[vgprG2LA+19+0], v[vgprValuB_X1_I0+7+0+0], v[60:63]
/*  mfmaIndex:25  */
/* localReadsVacancy: latencyLeft 5 */
_ds_load_b32 v[vgprValuB_X7_I0+0], v[vgprLocalReadAddrB] offset:16128 // L -> Reg lro=4032 swapByteOffset=0 ti=16 vIdx=0 rIdx=0 oIdx=0 buffer=7 iui=0
_ds_load_b32 v[vgprValuB_X7_I0+1], v[vgprLocalReadAddrB] offset:16192 // L -> Reg lro=4032 swapByteOffset=0 ti=16 vIdx=1 rIdx=0 oIdx=0 buffer=7 iui=0
v_mfma_f32_16x16x4_f32 v[52+0:55+0], v[vgprG2LA+19+0], v[vgprValuB_X1_I0+6+0+0], v[52:55]
/*  mfmaIndex:26  */
/* localReadsVacancy: latencyLeft 5 */
_ds_load_b32 v[vgprValuB_X7_I0+2], v[vgprLocalReadAddrB] offset:16256 // L -> Reg lro=4032 swapByteOffset=0 ti=16 vIdx=2 rIdx=0 oIdx=0 buffer=7 iui=0
_ds_load_b32 v[vgprValuB_X7_I0+3], v[vgprLocalReadAddrB] offset:16320 // L -> Reg lro=4032 swapByteOffset=0 ti=16 vIdx=3 rIdx=0 oIdx=0 buffer=7 iui=0
v_mfma_f32_16x16x4_f32 v[44+0:47+0], v[vgprG2LA+19+0], v[vgprValuB_X1_I0+5+0+0], v[44:47]
/*  mfmaIndex:27  */
/* localReadsVacancy: latencyLeft 5 */
_ds_load_b32 v[vgprValuB_X7_I0+4], v[vgprLocalReadAddrB] offset:16384 // L -> Reg lro=4032 swapByteOffset=0 ti=16 vIdx=4 rIdx=0 oIdx=0 buffer=7 iui=0
_ds_load_b32 v[vgprValuB_X7_I0+5], v[vgprLocalReadAddrB] offset:16448 // L -> Reg lro=4032 swapByteOffset=0 ti=16 vIdx=5 rIdx=0 oIdx=0 buffer=7 iui=0
v_mfma_f32_16x16x4_f32 v[36+0:39+0], v[vgprG2LA+19+0], v[vgprValuB_X1_I0+4+0+0], v[36:39]
/*  mfmaIndex:28  */
/* localReadsVacancy: latencyLeft 5 */
_ds_load_b32 v[vgprValuB_X7_I0+6], v[vgprLocalReadAddrB] offset:16512 // L -> Reg lro=4032 swapByteOffset=0 ti=16 vIdx=6 rIdx=0 oIdx=0 buffer=7 iui=0
_ds_load_b32 v[vgprValuB_X7_I0+7], v[vgprLocalReadAddrB] offset:16576 // L -> Reg lro=4032 swapByteOffset=0 ti=16 vIdx=7 rIdx=0 oIdx=0 buffer=7 iui=0
v_mfma_f32_16x16x4_f32 v[28+0:31+0], v[vgprG2LA+19+0], v[vgprValuB_X1_I0+3+0+0], v[28:31]
/*  mfmaIndex:29  */
/* localReadsVacancy: latencyLeft 5 */
v_mfma_f32_16x16x4_f32 v[20+0:23+0], v[vgprG2LA+19+0], v[vgprValuB_X1_I0+2+0+0], v[20:23]
/*  mfmaIndex:30  */
/* localReadsVacancy: latencyLeft 5 */
v_mfma_f32_16x16x4_f32 v[12+0:15+0], v[vgprG2LA+19+0], v[vgprValuB_X1_I0+1+0+0], v[12:15]
/*  mfmaIndex:31  */
/* localReadsVacancy: latencyLeft 5 */
v_mfma_f32_16x16x4_f32 v[4+0:7+0], v[vgprG2LA+19+0], v[vgprValuB_X1_I0+0+0+0], v[4:7]
/* numPrefetchIter=0 */
/* dataAtIterA=0 numReadsIterA=2 skipReadsIterA=1 readsPerIterA=2 */
/* dataAtIterB=0 numReadsIterB=2 skipReadsIterB=1 readsPerIterB=8 */


/* iter 2 (last unrolled loop) */

s_waitcnt vmcnt(10)                                // lgkmcnt=-1 vmcnt=10global read wait for DirectToVgpr

/*  grEndMfmaIndex:0, lwStartMfmaIndex:111, lwEndMfmaIndex:111  */
/*  numMfmaForLR:6, barrierMfmaIndex:121, LocalWritePerMfma:0.165 */
/*  mfmaIndex:32  */
/* localReadsVacancy: latencyLeft 5 */
s_waitcnt lgkmcnt(15)                              // lgkmcnt=0 vmcnt=-1wait for prior local read local write old=0, new=0 newLW=0 newLR=0
v_mfma_f32_16x16x4_f32 v[0+0:3+0], v[vgprG2LA+20+0], v[vgprValuB_X2_I0+0+0+0], v[0:3]
/*  mfmaIndex:33  */
/* localReadsVacancy: latencyLeft 5 */
v_mfma_f32_16x16x4_f32 v[8+0:11+0], v[vgprG2LA+20+0], v[vgprValuB_X2_I0+1+0+0], v[8:11]
/*  mfmaIndex:34  */
/* localReadsVacancy: latencyLeft 5 */
	;; [unrolled: 3-line block ×15, first 2 shown]
v_mfma_f32_16x16x4_f32 v[4+0:7+0], v[vgprG2LA+21+0], v[vgprValuB_X2_I0+0+0+0], v[4:7]
/* numPrefetchIter=0 */
/* dataAtIterA=1 numReadsIterA=3 skipReadsIterA=1 readsPerIterA=2 */
/* dataAtIterB=1 numReadsIterB=3 skipReadsIterB=1 readsPerIterB=8 */


/* iter 3 (last unrolled loop) */

s_waitcnt vmcnt(8)                                 // lgkmcnt=-1 vmcnt=8global read wait for DirectToVgpr

/*  grEndMfmaIndex:0, lwStartMfmaIndex:111, lwEndMfmaIndex:111  */
/*  numMfmaForLR:6, barrierMfmaIndex:121, LocalWritePerMfma:0.165 */
/*  mfmaIndex:48  */
/* localReadsVacancy: latencyLeft 5 */
s_waitcnt lgkmcnt(15)                              // lgkmcnt=0 vmcnt=-1wait for prior local read local write old=2, new=2 newLW=0 newLR=0
v_mfma_f32_16x16x4_f32 v[0+0:3+0], v[vgprG2LA+22+0], v[vgprValuB_X3_I0+0+0+0], v[0:3]
/*  mfmaIndex:49  */
/* localReadsVacancy: latencyLeft 5 */
v_mfma_f32_16x16x4_f32 v[8+0:11+0], v[vgprG2LA+22+0], v[vgprValuB_X3_I0+1+0+0], v[8:11]
/*  mfmaIndex:50  */
/* localReadsVacancy: latencyLeft 5 */
	;; [unrolled: 3-line block ×15, first 2 shown]
v_mfma_f32_16x16x4_f32 v[4+0:7+0], v[vgprG2LA+23+0], v[vgprValuB_X3_I0+0+0+0], v[4:7]
/* numPrefetchIter=0 */
/* dataAtIterA=2 numReadsIterA=4 skipReadsIterA=1 readsPerIterA=2 */
/* dataAtIterB=2 numReadsIterB=4 skipReadsIterB=1 readsPerIterB=8 */


/* iter 4 (last unrolled loop) */

s_waitcnt vmcnt(6)                                 // lgkmcnt=-1 vmcnt=6global read wait for DirectToVgpr

/*  grEndMfmaIndex:0, lwStartMfmaIndex:111, lwEndMfmaIndex:111  */
/*  numMfmaForLR:6, barrierMfmaIndex:121, LocalWritePerMfma:0.165 */
/*  mfmaIndex:64  */
/* localReadsVacancy: latencyLeft 5 */
s_waitcnt lgkmcnt(15)                              // lgkmcnt=0 vmcnt=-1wait for prior local read local write old=8, new=8 newLW=0 newLR=0
v_mfma_f32_16x16x4_f32 v[0+0:3+0], v[vgprG2LA+24+0], v[vgprValuB_X4_I0+0+0+0], v[0:3]
/*  mfmaIndex:65  */
/* localReadsVacancy: latencyLeft 5 */
v_mfma_f32_16x16x4_f32 v[8+0:11+0], v[vgprG2LA+24+0], v[vgprValuB_X4_I0+1+0+0], v[8:11]
/*  mfmaIndex:66  */
/* localReadsVacancy: latencyLeft 5 */
	;; [unrolled: 3-line block ×15, first 2 shown]
v_mfma_f32_16x16x4_f32 v[4+0:7+0], v[vgprG2LA+25+0], v[vgprValuB_X4_I0+0+0+0], v[4:7]
/* numPrefetchIter=0 */
/* dataAtIterA=3 numReadsIterA=5 skipReadsIterA=1 readsPerIterA=2 */
/* dataAtIterB=3 numReadsIterB=5 skipReadsIterB=1 readsPerIterB=8 */


/* iter 5 (last unrolled loop) */

s_waitcnt vmcnt(4)                                 // lgkmcnt=-1 vmcnt=4global read wait for DirectToVgpr

/*  grEndMfmaIndex:0, lwStartMfmaIndex:111, lwEndMfmaIndex:111  */
/*  numMfmaForLR:6, barrierMfmaIndex:121, LocalWritePerMfma:0.165 */
/*  mfmaIndex:80  */
/* localReadsVacancy: latencyLeft 5 */
s_waitcnt lgkmcnt(15)                              // lgkmcnt=0 vmcnt=-1wait for prior local read local write old=8, new=8 newLW=0 newLR=0
v_mfma_f32_16x16x4_f32 v[0+0:3+0], v[vgprG2LA+26+0], v[vgprValuB_X5_I0+0+0+0], v[0:3]
/*  mfmaIndex:81  */
/* localReadsVacancy: latencyLeft 5 */
v_mfma_f32_16x16x4_f32 v[8+0:11+0], v[vgprG2LA+26+0], v[vgprValuB_X5_I0+1+0+0], v[8:11]
/*  mfmaIndex:82  */
/* localReadsVacancy: latencyLeft 5 */
	;; [unrolled: 3-line block ×15, first 2 shown]
v_mfma_f32_16x16x4_f32 v[4+0:7+0], v[vgprG2LA+27+0], v[vgprValuB_X5_I0+0+0+0], v[4:7]
/* numPrefetchIter=0 */
/* dataAtIterA=4 numReadsIterA=6 skipReadsIterA=1 readsPerIterA=2 */
/* dataAtIterB=4 numReadsIterB=6 skipReadsIterB=1 readsPerIterB=8 */


/* iter 6 (last unrolled loop) */

s_waitcnt vmcnt(2)                                 // lgkmcnt=-1 vmcnt=2global read wait for DirectToVgpr

/*  grEndMfmaIndex:0, lwStartMfmaIndex:111, lwEndMfmaIndex:111  */
/*  numMfmaForLR:6, barrierMfmaIndex:121, LocalWritePerMfma:0.165 */
/*  mfmaIndex:96  */
/* localReadsVacancy: latencyLeft 5 */
s_waitcnt lgkmcnt(8)                               // lgkmcnt=0 vmcnt=-1wait for prior local read local write old=8, new=8 newLW=0 newLR=0
v_mfma_f32_16x16x4_f32 v[0+0:3+0], v[vgprG2LA+28+0], v[vgprValuB_X6_I0+0+0+0], v[0:3]
/*  mfmaIndex:97  */
/* localReadsVacancy: latencyLeft 5 */
v_mfma_f32_16x16x4_f32 v[8+0:11+0], v[vgprG2LA+28+0], v[vgprValuB_X6_I0+1+0+0], v[8:11]
/*  mfmaIndex:98  */
/* localReadsVacancy: latencyLeft 5 */
	;; [unrolled: 3-line block ×14, first 2 shown]
/* 1 LDS buffer: read-sync-write */
s_waitcnt lgkmcnt(0)                               // 
s_barrier                                          // 
v_mfma_f32_16x16x4_f32 v[12+0:15+0], v[vgprG2LA+29+0], v[vgprValuB_X6_I0+1+0+0], v[12:15]
/*  mfmaIndex:111  */
/* localReadsVacancy: latencyLeft 5 */
s_setprio 3                                        // store optimization
v_mfma_f32_16x16x4_f32 v[4+0:7+0], v[vgprG2LA+29+0], v[vgprValuB_X6_I0+0+0+0], v[4:7]
/* numPrefetchIter=0 */
/* dataAtIterA=5 numReadsIterA=7 skipReadsIterA=1 readsPerIterA=2 */
/* dataAtIterB=5 numReadsIterB=7 skipReadsIterB=1 readsPerIterB=8 */


/* iter 7 (last unrolled loop) */

s_waitcnt vmcnt(0)                                 // lgkmcnt=-1 vmcnt=0global read wait for DirectToVgpr

/*  grEndMfmaIndex:0, lwStartMfmaIndex:111, lwEndMfmaIndex:111  */
/*  numMfmaForLR:6, barrierMfmaIndex:121, LocalWritePerMfma:0.165 */
/*  mfmaIndex:112  */
v_mfma_f32_16x16x4_f32 v[0+0:3+0], v[vgprG2LA+30+0], v[vgprValuB_X7_I0+0+0+0], v[0:3]
/*  mfmaIndex:113  */
v_mfma_f32_16x16x4_f32 v[8+0:11+0], v[vgprG2LA+30+0], v[vgprValuB_X7_I0+1+0+0], v[8:11]
	;; [unrolled: 2-line block ×9, first 2 shown]
s_setprio 0                                        // store optimization
/*  mfmaIndex:121  */
v_mfma_f32_16x16x4_f32 v[12+0:15+0], v[vgprG2LA+31+0], v[vgprValuB_X7_I0+1+0+0], v[12:15]
/*  mfmaIndex:122  */
s_setprio 3                                        // store optimization
v_mfma_f32_16x16x4_f32 v[20+0:23+0], v[vgprG2LA+31+0], v[vgprValuB_X7_I0+2+0+0], v[20:23]
/*  mfmaIndex:123  */
v_mfma_f32_16x16x4_f32 v[28+0:31+0], v[vgprG2LA+31+0], v[vgprValuB_X7_I0+3+0+0], v[28:31]
/*  mfmaIndex:124  */
	;; [unrolled: 2-line block ×5, first 2 shown]
v_mfma_f32_16x16x4_f32 v[60+0:63+0], v[vgprG2LA+31+0], v[vgprValuB_X7_I0+7+0+0], v[60:63]

label_0033: // EvenEndNoLoadLoopOrd 

PrefetchGlobalLastIterEnd_5:


/******************************************/
/* Tail Loop                              */
/******************************************/


/* local write reset offsets a */


	;; [unrolled: 1-line block ×4, first 2 shown]
/* local write reset offsets b */


	;; [unrolled: 1-line block ×4, first 2 shown]
//numIterL = (((sizeL % LOCAL_DEPTHU) + LOCAL_SPLITU - 1) / LOCAL_SPLITU)
s_and_b32 s[sgprLoopCounterL], 31, s[sgprSizesSum+0] // s[sgprLoopCounterL] = s[sgprSizesSum+0] % 32
s_cmp_eq_u32 s[sgprLoopCounterL], 0x0              // numIterL == 0
s_cbranch_scc1 SkipTailLoopL_8                     // skip to end of tail loop b/c numIter==0
s_mov_b32 s[sgprOrigLoopCounter], 0                // repurpose to count each localRead increment


/* remove stagger offsets for tail loop */

s_mov_b32 s56, 3                                   // 
s_mul_hi_u32 s55, s56, s[sgprGlobalReadIncsA+0]    // 3 * GlobalReadIncs
s_mul_i32 s54, s56, s[sgprGlobalReadIncsA+0]       // 3 * GlobalReadIncs
s_mul_hi_u32 s57, s[sgprStaggerUIter], s[sgprGlobalReadIncsA+0] // StaggerUIter * GlobalReadIncs
s_mul_i32 s56, s[sgprStaggerUIter], s[sgprGlobalReadIncsA+0] // StaggerUIter * GlobalReadIncs
s_sub_u32 s54, s54, s56                            // start offset S in bytes
s_subb_u32 s55, s55, s57                           // start offset S in bytes
s_sub_u32 s54, s54, s[sgprWrapUA]                  // S - WrapU
s_subb_u32 s55, s55, s[sgprWrapUA+1]               // S - WrapU
s_add_u32 s[sgprSrdA+0], s[sgprSrdA+0], s54        // gra SRD += inc(lower)
s_addc_u32  s[sgprSrdA+1], s[sgprSrdA+1], s55      // gra SRD += inc(upper)
s_sub_u32 s[sgprShadowLimitA+0], s[sgprShadowLimitA+0], s54 // limit -= inc)
s_subb_u32 s[sgprShadowLimitA+1], s[sgprShadowLimitA+1], s55 // limit -= inc)
s_cmp_eq_u32 s[sgprShadowLimitA+1], 0              // are we within 2^32?
s_cselect_b32 s[sgprSrdA+2], s[sgprShadowLimitA+0], BufferLimitA // Move shadow to real if we are within 2^32

s_mov_b32 s56, 3                                   // 
s_mul_hi_u32 s55, s56, s[sgprGlobalReadIncsB+0]    // 3 * GlobalReadIncs
s_mul_i32 s54, s56, s[sgprGlobalReadIncsB+0]       // 3 * GlobalReadIncs
s_mul_hi_u32 s57, s[sgprStaggerUIter], s[sgprGlobalReadIncsB+0] // StaggerUIter * GlobalReadIncs
s_mul_i32 s56, s[sgprStaggerUIter], s[sgprGlobalReadIncsB+0] // StaggerUIter * GlobalReadIncs
s_sub_u32 s54, s54, s56                            // start offset S in bytes
s_subb_u32 s55, s55, s57                           // start offset S in bytes
s_sub_u32 s54, s54, s[sgprWrapUB]                  // S - WrapU
s_subb_u32 s55, s55, s[sgprWrapUB+1]               // S - WrapU
s_add_u32 s[sgprSrdB+0], s[sgprSrdB+0], s54        // gra SRD += inc(lower)
s_addc_u32  s[sgprSrdB+1], s[sgprSrdB+1], s55      // gra SRD += inc(upper)
s_sub_u32 s[sgprShadowLimitB+0], s[sgprShadowLimitB+0], s54 // limit -= inc)
s_subb_u32 s[sgprShadowLimitB+1], s[sgprShadowLimitB+1], s55 // limit -= inc)
s_cmp_eq_u32 s[sgprShadowLimitB+1], 0              // are we within 2^32?
s_cselect_b32 s[sgprSrdB+2], s[sgprShadowLimitB+0], BufferLimitB // Move shadow to real if we are within 2^32


/* Update M0 for DTLDS */


	;; [unrolled: 1-line block ×3, first 2 shown]
/* global read b */

/* g2l=0, load component 0 */
_buffer_load_b32 v[vgprG2LB+0+0], v[vgprGlobalReadOffsetB+0], s[sgprSrdB:sgprSrdB+3], 0, offen offset:0 // load one buffer value
/* g2l=0, load component 1 */
_buffer_load_b32 v[vgprG2LB+0+1], v[vgprGlobalReadOffsetB+0], s[sgprSrdB:sgprSrdB+3], 0, offen offset:4 // load one buffer value
	;; [unrolled: 2-line block ×16, first 2 shown]


/* Update M0 for DTLDS */


	;; [unrolled: 1-line block ×3, first 2 shown]
/* global read a */

/* g2l=0, load component 0 */
_buffer_load_b32 v[vgprG2LA+0+0], v[vgprGlobalReadOffsetA+0], s[sgprSrdA:sgprSrdA+3], 0, offen offset:0 // load one buffer value
/* g2l=1, load component 0 */
_buffer_load_b32 v[vgprG2LA+1+0], v[vgprGlobalReadOffsetA+1], s[sgprSrdA:sgprSrdA+3], 0, offen offset:0 // load one buffer value
	;; [unrolled: 2-line block ×16, first 2 shown]

s_waitcnt vmcnt(0)                                 // lgkmcnt=-1 vmcnt=02wait for global read

// Skip force waitcnt0
s_barrier //


/* Done global A/B reads */


	;; [unrolled: 1-line block ×4, first 2 shown]
/* local write a */


	;; [unrolled: 1-line block ×3, first 2 shown]
/* local write b */

_ds_store_b128 v[vgprLocalWriteAddrB], v[vgprG2LB+0:vgprG2LB+0+3] offset:0 // lwoB_0_0_0_0 = (0*LSCB) + (0*LSPB)(*MT1J+PAD) = 0
_ds_store_b128 v[vgprLocalWriteAddrB], v[vgprG2LB+4:vgprG2LB+4+3] offset:1152 // lwoB_0_0_1_0 = (0*LSCB) + (1*LSPB)(*MT1J+PAD) = 1152
_ds_store_b128 v[vgprLocalWriteAddrB], v[vgprG2LB+8:vgprG2LB+8+3] offset:2304 // lwoB_0_0_2_0 = (0*LSCB) + (2*LSPB)(*MT1J+PAD) = 2304
_ds_store_b128 v[vgprLocalWriteAddrB], v[vgprG2LB+12:vgprG2LB+12+3] offset:3456 // lwoB_0_0_3_0 = (0*LSCB) + (3*LSPB)(*MT1J+PAD) = 3456

s_waitcnt lgkmcnt(0)                               // lgkmcnt=0 vmcnt=-15wait for local write

// Skip force waitcnt0
s_barrier //


/* local read reset offsets a */


	;; [unrolled: 1-line block ×3, first 2 shown]
/* local read reset offsets b */


	;; [unrolled: 1-line block ×3, first 2 shown]
/* local read init pointers a */


	;; [unrolled: 1-line block ×3, first 2 shown]
/* local read init pointers b */


/* localReadInitPointers */


/* tail loop: macs */

TailLoopBeginL_6:


/* tail loop unroll iter 0 */


/* local read a */


	;; [unrolled: 1-line block ×3, first 2 shown]
/* local read b */

_ds_load_b32 v[vgprValuB_X0_I0+0], v[vgprLocalReadAddrB] offset:0 // L -> Reg lro=0 swapByteOffset=0 ti=16 vIdx=0 rIdx=0 oIdx=0 buffer=0 iui=0
_ds_load_b32 v[vgprValuB_X0_I0+1], v[vgprLocalReadAddrB] offset:64 // L -> Reg lro=0 swapByteOffset=0 ti=16 vIdx=1 rIdx=0 oIdx=0 buffer=0 iui=0
_ds_load_b32 v[vgprValuB_X0_I0+2], v[vgprLocalReadAddrB] offset:128 // L -> Reg lro=0 swapByteOffset=0 ti=16 vIdx=2 rIdx=0 oIdx=0 buffer=0 iui=0
_ds_load_b32 v[vgprValuB_X0_I0+3], v[vgprLocalReadAddrB] offset:192 // L -> Reg lro=0 swapByteOffset=0 ti=16 vIdx=3 rIdx=0 oIdx=0 buffer=0 iui=0
_ds_load_b32 v[vgprValuB_X0_I0+4], v[vgprLocalReadAddrB] offset:256 // L -> Reg lro=0 swapByteOffset=0 ti=16 vIdx=4 rIdx=0 oIdx=0 buffer=0 iui=0
_ds_load_b32 v[vgprValuB_X0_I0+5], v[vgprLocalReadAddrB] offset:320 // L -> Reg lro=0 swapByteOffset=0 ti=16 vIdx=5 rIdx=0 oIdx=0 buffer=0 iui=0
_ds_load_b32 v[vgprValuB_X0_I0+6], v[vgprLocalReadAddrB] offset:384 // L -> Reg lro=0 swapByteOffset=0 ti=16 vIdx=6 rIdx=0 oIdx=0 buffer=0 iui=0
_ds_load_b32 v[vgprValuB_X0_I0+7], v[vgprLocalReadAddrB] offset:448 // L -> Reg lro=0 swapByteOffset=0 ti=16 vIdx=7 rIdx=0 oIdx=0 buffer=0 iui=0


/* local read inc a */


	;; [unrolled: 1-line block ×3, first 2 shown]
/* local read inc b */

s_mov_b32 s53, 0x900                               // inc
_v_add_co_u32 v[vgprLocalReadAddrB], vcc, s53, v[vgprLocalReadAddrB] // lrB += 2304 (LSU*(MT+PAD)*bpe)

s_waitcnt lgkmcnt(0)                               // lgkmcnt=0 vmcnt=-14wait for local read


v_mfma_f32_16x16x4_f32 v[0+0:3+0], v[vgprG2LA+0+0], v[vgprValuB_X0_I0+0+0+0], v[0:3]
v_mfma_f32_16x16x4_f32 v[8+0:11+0], v[vgprG2LA+0+0], v[vgprValuB_X0_I0+1+0+0], v[8:11]
	;; [unrolled: 1-line block ×16, first 2 shown]


/* closeLoop loopL finalLoop=0 tailLoop=1 */
s_sub_i32 s[sgprLoopCounterL], s[sgprLoopCounterL], 0x4 // dec counterL (tailLoop)
s_add_u32 s[sgprOrigLoopCounter], s[sgprOrigLoopCounter], 0x4 // inc counterL
s_cmp_le_i32 s[sgprLoopCounterL], 0x0              // counterL<=0
s_cbranch_scc1 TailLoopEndL_7                      // exit LoopL


/* tail loop unroll iter 1 */


/* local read a */


	;; [unrolled: 1-line block ×3, first 2 shown]
/* local read b */

_ds_load_b32 v[vgprValuB_X1_I0+0], v[vgprLocalReadAddrB] offset:0 // L -> Reg lro=0 swapByteOffset=0 ti=16 vIdx=0 rIdx=0 oIdx=0 buffer=1 iui=0
_ds_load_b32 v[vgprValuB_X1_I0+1], v[vgprLocalReadAddrB] offset:64 // L -> Reg lro=0 swapByteOffset=0 ti=16 vIdx=1 rIdx=0 oIdx=0 buffer=1 iui=0
_ds_load_b32 v[vgprValuB_X1_I0+2], v[vgprLocalReadAddrB] offset:128 // L -> Reg lro=0 swapByteOffset=0 ti=16 vIdx=2 rIdx=0 oIdx=0 buffer=1 iui=0
_ds_load_b32 v[vgprValuB_X1_I0+3], v[vgprLocalReadAddrB] offset:192 // L -> Reg lro=0 swapByteOffset=0 ti=16 vIdx=3 rIdx=0 oIdx=0 buffer=1 iui=0
_ds_load_b32 v[vgprValuB_X1_I0+4], v[vgprLocalReadAddrB] offset:256 // L -> Reg lro=0 swapByteOffset=0 ti=16 vIdx=4 rIdx=0 oIdx=0 buffer=1 iui=0
_ds_load_b32 v[vgprValuB_X1_I0+5], v[vgprLocalReadAddrB] offset:320 // L -> Reg lro=0 swapByteOffset=0 ti=16 vIdx=5 rIdx=0 oIdx=0 buffer=1 iui=0
_ds_load_b32 v[vgprValuB_X1_I0+6], v[vgprLocalReadAddrB] offset:384 // L -> Reg lro=0 swapByteOffset=0 ti=16 vIdx=6 rIdx=0 oIdx=0 buffer=1 iui=0
_ds_load_b32 v[vgprValuB_X1_I0+7], v[vgprLocalReadAddrB] offset:448 // L -> Reg lro=0 swapByteOffset=0 ti=16 vIdx=7 rIdx=0 oIdx=0 buffer=1 iui=0


/* local read inc a */


	;; [unrolled: 1-line block ×3, first 2 shown]
/* local read inc b */

s_mov_b32 s53, 0x900                               // inc
_v_add_co_u32 v[vgprLocalReadAddrB], vcc, s53, v[vgprLocalReadAddrB] // lrB += 2304 (LSU*(MT+PAD)*bpe)

s_waitcnt lgkmcnt(0)                               // lgkmcnt=0 vmcnt=-14wait for local read


v_mfma_f32_16x16x4_f32 v[0+0:3+0], v[vgprG2LA+2+0], v[vgprValuB_X1_I0+0+0+0], v[0:3]
v_mfma_f32_16x16x4_f32 v[8+0:11+0], v[vgprG2LA+2+0], v[vgprValuB_X1_I0+1+0+0], v[8:11]
	;; [unrolled: 1-line block ×16, first 2 shown]


/* closeLoop loopL finalLoop=0 tailLoop=1 */
s_sub_i32 s[sgprLoopCounterL], s[sgprLoopCounterL], 0x4 // dec counterL (tailLoop)
s_add_u32 s[sgprOrigLoopCounter], s[sgprOrigLoopCounter], 0x4 // inc counterL
s_cmp_le_i32 s[sgprLoopCounterL], 0x0              // counterL<=0
s_cbranch_scc1 TailLoopEndL_7                      // exit LoopL


/* tail loop unroll iter 2 */


/* local read a */


	;; [unrolled: 1-line block ×3, first 2 shown]
/* local read b */

_ds_load_b32 v[vgprValuB_X2_I0+0], v[vgprLocalReadAddrB] offset:0 // L -> Reg lro=0 swapByteOffset=0 ti=16 vIdx=0 rIdx=0 oIdx=0 buffer=2 iui=0
_ds_load_b32 v[vgprValuB_X2_I0+1], v[vgprLocalReadAddrB] offset:64 // L -> Reg lro=0 swapByteOffset=0 ti=16 vIdx=1 rIdx=0 oIdx=0 buffer=2 iui=0
	;; [unrolled: 1-line block ×8, first 2 shown]


/* local read inc a */


	;; [unrolled: 1-line block ×3, first 2 shown]
/* local read inc b */

s_mov_b32 s53, 0x900                               // inc
_v_add_co_u32 v[vgprLocalReadAddrB], vcc, s53, v[vgprLocalReadAddrB] // lrB += 2304 (LSU*(MT+PAD)*bpe)

s_waitcnt lgkmcnt(0)                               // lgkmcnt=0 vmcnt=-14wait for local read


v_mfma_f32_16x16x4_f32 v[0+0:3+0], v[vgprG2LA+4+0], v[vgprValuB_X2_I0+0+0+0], v[0:3]
v_mfma_f32_16x16x4_f32 v[8+0:11+0], v[vgprG2LA+4+0], v[vgprValuB_X2_I0+1+0+0], v[8:11]
	;; [unrolled: 1-line block ×16, first 2 shown]


/* closeLoop loopL finalLoop=0 tailLoop=1 */
s_sub_i32 s[sgprLoopCounterL], s[sgprLoopCounterL], 0x4 // dec counterL (tailLoop)
s_add_u32 s[sgprOrigLoopCounter], s[sgprOrigLoopCounter], 0x4 // inc counterL
s_cmp_le_i32 s[sgprLoopCounterL], 0x0              // counterL<=0
s_cbranch_scc1 TailLoopEndL_7                      // exit LoopL


/* tail loop unroll iter 3 */


/* local read a */


	;; [unrolled: 1-line block ×3, first 2 shown]
/* local read b */

_ds_load_b32 v[vgprValuB_X3_I0+0], v[vgprLocalReadAddrB] offset:0 // L -> Reg lro=0 swapByteOffset=0 ti=16 vIdx=0 rIdx=0 oIdx=0 buffer=3 iui=0
_ds_load_b32 v[vgprValuB_X3_I0+1], v[vgprLocalReadAddrB] offset:64 // L -> Reg lro=0 swapByteOffset=0 ti=16 vIdx=1 rIdx=0 oIdx=0 buffer=3 iui=0
	;; [unrolled: 1-line block ×8, first 2 shown]


/* local read inc a */


	;; [unrolled: 1-line block ×3, first 2 shown]
/* local read inc b */

s_mov_b32 s53, 0x900                               // inc
_v_add_co_u32 v[vgprLocalReadAddrB], vcc, s53, v[vgprLocalReadAddrB] // lrB += 2304 (LSU*(MT+PAD)*bpe)

s_waitcnt lgkmcnt(0)                               // lgkmcnt=0 vmcnt=-14wait for local read


v_mfma_f32_16x16x4_f32 v[0+0:3+0], v[vgprG2LA+6+0], v[vgprValuB_X3_I0+0+0+0], v[0:3]
v_mfma_f32_16x16x4_f32 v[8+0:11+0], v[vgprG2LA+6+0], v[vgprValuB_X3_I0+1+0+0], v[8:11]
	;; [unrolled: 1-line block ×16, first 2 shown]


/* closeLoop loopL finalLoop=0 tailLoop=1 */
s_sub_i32 s[sgprLoopCounterL], s[sgprLoopCounterL], 0x4 // dec counterL (tailLoop)
s_add_u32 s[sgprOrigLoopCounter], s[sgprOrigLoopCounter], 0x4 // inc counterL
s_cmp_le_i32 s[sgprLoopCounterL], 0x0              // counterL<=0
s_cbranch_scc1 TailLoopEndL_7                      // exit LoopL


/* tail loop unroll iter 4 */


/* local read a */


	;; [unrolled: 1-line block ×3, first 2 shown]
/* local read b */

_ds_load_b32 v[vgprValuB_X4_I0+0], v[vgprLocalReadAddrB] offset:0 // L -> Reg lro=0 swapByteOffset=0 ti=16 vIdx=0 rIdx=0 oIdx=0 buffer=4 iui=0
_ds_load_b32 v[vgprValuB_X4_I0+1], v[vgprLocalReadAddrB] offset:64 // L -> Reg lro=0 swapByteOffset=0 ti=16 vIdx=1 rIdx=0 oIdx=0 buffer=4 iui=0
	;; [unrolled: 1-line block ×8, first 2 shown]


/* local read inc a */


	;; [unrolled: 1-line block ×3, first 2 shown]
/* local read inc b */

s_mov_b32 s53, 0x900                               // inc
_v_add_co_u32 v[vgprLocalReadAddrB], vcc, s53, v[vgprLocalReadAddrB] // lrB += 2304 (LSU*(MT+PAD)*bpe)

s_waitcnt lgkmcnt(0)                               // lgkmcnt=0 vmcnt=-14wait for local read


v_mfma_f32_16x16x4_f32 v[0+0:3+0], v[vgprG2LA+8+0], v[vgprValuB_X4_I0+0+0+0], v[0:3]
v_mfma_f32_16x16x4_f32 v[8+0:11+0], v[vgprG2LA+8+0], v[vgprValuB_X4_I0+1+0+0], v[8:11]
	;; [unrolled: 1-line block ×16, first 2 shown]


/* closeLoop loopL finalLoop=0 tailLoop=1 */
s_sub_i32 s[sgprLoopCounterL], s[sgprLoopCounterL], 0x4 // dec counterL (tailLoop)
s_add_u32 s[sgprOrigLoopCounter], s[sgprOrigLoopCounter], 0x4 // inc counterL
s_cmp_le_i32 s[sgprLoopCounterL], 0x0              // counterL<=0
s_cbranch_scc1 TailLoopEndL_7                      // exit LoopL


/* tail loop unroll iter 5 */


/* local read a */


	;; [unrolled: 1-line block ×3, first 2 shown]
/* local read b */

_ds_load_b32 v[vgprValuB_X5_I0+0], v[vgprLocalReadAddrB] offset:0 // L -> Reg lro=0 swapByteOffset=0 ti=16 vIdx=0 rIdx=0 oIdx=0 buffer=5 iui=0
_ds_load_b32 v[vgprValuB_X5_I0+1], v[vgprLocalReadAddrB] offset:64 // L -> Reg lro=0 swapByteOffset=0 ti=16 vIdx=1 rIdx=0 oIdx=0 buffer=5 iui=0
	;; [unrolled: 1-line block ×8, first 2 shown]


/* local read inc a */


	;; [unrolled: 1-line block ×3, first 2 shown]
/* local read inc b */

s_mov_b32 s53, 0x900                               // inc
_v_add_co_u32 v[vgprLocalReadAddrB], vcc, s53, v[vgprLocalReadAddrB] // lrB += 2304 (LSU*(MT+PAD)*bpe)

s_waitcnt lgkmcnt(0)                               // lgkmcnt=0 vmcnt=-14wait for local read


v_mfma_f32_16x16x4_f32 v[0+0:3+0], v[vgprG2LA+10+0], v[vgprValuB_X5_I0+0+0+0], v[0:3]
v_mfma_f32_16x16x4_f32 v[8+0:11+0], v[vgprG2LA+10+0], v[vgprValuB_X5_I0+1+0+0], v[8:11]
v_mfma_f32_16x16x4_f32 v[16+0:19+0], v[vgprG2LA+10+0], v[vgprValuB_X5_I0+2+0+0], v[16:19]
v_mfma_f32_16x16x4_f32 v[24+0:27+0], v[vgprG2LA+10+0], v[vgprValuB_X5_I0+3+0+0], v[24:27]
v_mfma_f32_16x16x4_f32 v[32+0:35+0], v[vgprG2LA+10+0], v[vgprValuB_X5_I0+4+0+0], v[32:35]
v_mfma_f32_16x16x4_f32 v[40+0:43+0], v[vgprG2LA+10+0], v[vgprValuB_X5_I0+5+0+0], v[40:43]
v_mfma_f32_16x16x4_f32 v[48+0:51+0], v[vgprG2LA+10+0], v[vgprValuB_X5_I0+6+0+0], v[48:51]
v_mfma_f32_16x16x4_f32 v[56+0:59+0], v[vgprG2LA+10+0], v[vgprValuB_X5_I0+7+0+0], v[56:59]
v_mfma_f32_16x16x4_f32 v[60+0:63+0], v[vgprG2LA+11+0], v[vgprValuB_X5_I0+7+0+0], v[60:63]
v_mfma_f32_16x16x4_f32 v[52+0:55+0], v[vgprG2LA+11+0], v[vgprValuB_X5_I0+6+0+0], v[52:55]
v_mfma_f32_16x16x4_f32 v[44+0:47+0], v[vgprG2LA+11+0], v[vgprValuB_X5_I0+5+0+0], v[44:47]
v_mfma_f32_16x16x4_f32 v[36+0:39+0], v[vgprG2LA+11+0], v[vgprValuB_X5_I0+4+0+0], v[36:39]
v_mfma_f32_16x16x4_f32 v[28+0:31+0], v[vgprG2LA+11+0], v[vgprValuB_X5_I0+3+0+0], v[28:31]
v_mfma_f32_16x16x4_f32 v[20+0:23+0], v[vgprG2LA+11+0], v[vgprValuB_X5_I0+2+0+0], v[20:23]
v_mfma_f32_16x16x4_f32 v[12+0:15+0], v[vgprG2LA+11+0], v[vgprValuB_X5_I0+1+0+0], v[12:15]
v_mfma_f32_16x16x4_f32 v[4+0:7+0], v[vgprG2LA+11+0], v[vgprValuB_X5_I0+0+0+0], v[4:7]


/* closeLoop loopL finalLoop=0 tailLoop=1 */
s_sub_i32 s[sgprLoopCounterL], s[sgprLoopCounterL], 0x4 // dec counterL (tailLoop)
s_add_u32 s[sgprOrigLoopCounter], s[sgprOrigLoopCounter], 0x4 // inc counterL
s_cmp_le_i32 s[sgprLoopCounterL], 0x0              // counterL<=0
s_cbranch_scc1 TailLoopEndL_7                      // exit LoopL


/* tail loop unroll iter 6 */


/* local read a */


	;; [unrolled: 1-line block ×3, first 2 shown]
/* local read b */

_ds_load_b32 v[vgprValuB_X6_I0+0], v[vgprLocalReadAddrB] offset:0 // L -> Reg lro=0 swapByteOffset=0 ti=16 vIdx=0 rIdx=0 oIdx=0 buffer=6 iui=0
_ds_load_b32 v[vgprValuB_X6_I0+1], v[vgprLocalReadAddrB] offset:64 // L -> Reg lro=0 swapByteOffset=0 ti=16 vIdx=1 rIdx=0 oIdx=0 buffer=6 iui=0
	;; [unrolled: 1-line block ×8, first 2 shown]


/* local read inc a */


	;; [unrolled: 1-line block ×3, first 2 shown]
/* local read inc b */

s_mov_b32 s53, 0x900                               // inc
_v_add_co_u32 v[vgprLocalReadAddrB], vcc, s53, v[vgprLocalReadAddrB] // lrB += 2304 (LSU*(MT+PAD)*bpe)

s_waitcnt lgkmcnt(0)                               // lgkmcnt=0 vmcnt=-14wait for local read


v_mfma_f32_16x16x4_f32 v[0+0:3+0], v[vgprG2LA+12+0], v[vgprValuB_X6_I0+0+0+0], v[0:3]
v_mfma_f32_16x16x4_f32 v[8+0:11+0], v[vgprG2LA+12+0], v[vgprValuB_X6_I0+1+0+0], v[8:11]
v_mfma_f32_16x16x4_f32 v[16+0:19+0], v[vgprG2LA+12+0], v[vgprValuB_X6_I0+2+0+0], v[16:19]
v_mfma_f32_16x16x4_f32 v[24+0:27+0], v[vgprG2LA+12+0], v[vgprValuB_X6_I0+3+0+0], v[24:27]
v_mfma_f32_16x16x4_f32 v[32+0:35+0], v[vgprG2LA+12+0], v[vgprValuB_X6_I0+4+0+0], v[32:35]
v_mfma_f32_16x16x4_f32 v[40+0:43+0], v[vgprG2LA+12+0], v[vgprValuB_X6_I0+5+0+0], v[40:43]
v_mfma_f32_16x16x4_f32 v[48+0:51+0], v[vgprG2LA+12+0], v[vgprValuB_X6_I0+6+0+0], v[48:51]
v_mfma_f32_16x16x4_f32 v[56+0:59+0], v[vgprG2LA+12+0], v[vgprValuB_X6_I0+7+0+0], v[56:59]
v_mfma_f32_16x16x4_f32 v[60+0:63+0], v[vgprG2LA+13+0], v[vgprValuB_X6_I0+7+0+0], v[60:63]
v_mfma_f32_16x16x4_f32 v[52+0:55+0], v[vgprG2LA+13+0], v[vgprValuB_X6_I0+6+0+0], v[52:55]
v_mfma_f32_16x16x4_f32 v[44+0:47+0], v[vgprG2LA+13+0], v[vgprValuB_X6_I0+5+0+0], v[44:47]
v_mfma_f32_16x16x4_f32 v[36+0:39+0], v[vgprG2LA+13+0], v[vgprValuB_X6_I0+4+0+0], v[36:39]
v_mfma_f32_16x16x4_f32 v[28+0:31+0], v[vgprG2LA+13+0], v[vgprValuB_X6_I0+3+0+0], v[28:31]
v_mfma_f32_16x16x4_f32 v[20+0:23+0], v[vgprG2LA+13+0], v[vgprValuB_X6_I0+2+0+0], v[20:23]
v_mfma_f32_16x16x4_f32 v[12+0:15+0], v[vgprG2LA+13+0], v[vgprValuB_X6_I0+1+0+0], v[12:15]
v_mfma_f32_16x16x4_f32 v[4+0:7+0], v[vgprG2LA+13+0], v[vgprValuB_X6_I0+0+0+0], v[4:7]


/* closeLoop loopL finalLoop=0 tailLoop=1 */
s_sub_i32 s[sgprLoopCounterL], s[sgprLoopCounterL], 0x4 // dec counterL (tailLoop)
s_add_u32 s[sgprOrigLoopCounter], s[sgprOrigLoopCounter], 0x4 // inc counterL
s_cmp_le_i32 s[sgprLoopCounterL], 0x0              // counterL<=0
s_cbranch_scc1 TailLoopEndL_7                      // exit LoopL


/* tail loop unroll iter 7 */


/* local read a */


	;; [unrolled: 1-line block ×3, first 2 shown]
/* local read b */

_ds_load_b32 v[vgprValuB_X7_I0+0], v[vgprLocalReadAddrB] offset:0 // L -> Reg lro=0 swapByteOffset=0 ti=16 vIdx=0 rIdx=0 oIdx=0 buffer=7 iui=0
_ds_load_b32 v[vgprValuB_X7_I0+1], v[vgprLocalReadAddrB] offset:64 // L -> Reg lro=0 swapByteOffset=0 ti=16 vIdx=1 rIdx=0 oIdx=0 buffer=7 iui=0
_ds_load_b32 v[vgprValuB_X7_I0+2], v[vgprLocalReadAddrB] offset:128 // L -> Reg lro=0 swapByteOffset=0 ti=16 vIdx=2 rIdx=0 oIdx=0 buffer=7 iui=0
_ds_load_b32 v[vgprValuB_X7_I0+3], v[vgprLocalReadAddrB] offset:192 // L -> Reg lro=0 swapByteOffset=0 ti=16 vIdx=3 rIdx=0 oIdx=0 buffer=7 iui=0
_ds_load_b32 v[vgprValuB_X7_I0+4], v[vgprLocalReadAddrB] offset:256 // L -> Reg lro=0 swapByteOffset=0 ti=16 vIdx=4 rIdx=0 oIdx=0 buffer=7 iui=0
_ds_load_b32 v[vgprValuB_X7_I0+5], v[vgprLocalReadAddrB] offset:320 // L -> Reg lro=0 swapByteOffset=0 ti=16 vIdx=5 rIdx=0 oIdx=0 buffer=7 iui=0
_ds_load_b32 v[vgprValuB_X7_I0+6], v[vgprLocalReadAddrB] offset:384 // L -> Reg lro=0 swapByteOffset=0 ti=16 vIdx=6 rIdx=0 oIdx=0 buffer=7 iui=0
_ds_load_b32 v[vgprValuB_X7_I0+7], v[vgprLocalReadAddrB] offset:448 // L -> Reg lro=0 swapByteOffset=0 ti=16 vIdx=7 rIdx=0 oIdx=0 buffer=7 iui=0


/* local read inc a */


	;; [unrolled: 1-line block ×3, first 2 shown]
/* local read inc b */

s_mov_b32 s53, 0x900                               // inc
_v_add_co_u32 v[vgprLocalReadAddrB], vcc, s53, v[vgprLocalReadAddrB] // lrB += 2304 (LSU*(MT+PAD)*bpe)

s_waitcnt lgkmcnt(0)                               // lgkmcnt=0 vmcnt=-14wait for local read


v_mfma_f32_16x16x4_f32 v[0+0:3+0], v[vgprG2LA+14+0], v[vgprValuB_X7_I0+0+0+0], v[0:3]
v_mfma_f32_16x16x4_f32 v[8+0:11+0], v[vgprG2LA+14+0], v[vgprValuB_X7_I0+1+0+0], v[8:11]
	;; [unrolled: 1-line block ×16, first 2 shown]


/* closeLoop loopL finalLoop=1 tailLoop=1 */
s_sub_i32 s[sgprLoopCounterL], s[sgprLoopCounterL], 0x4 // dec counterL (tailLoop)
s_add_u32 s[sgprOrigLoopCounter], s[sgprOrigLoopCounter], 0x4 // inc counterL
s_cmp_le_i32 s[sgprLoopCounterL], 0x0              // counterL<=0
s_cbranch_scc0 TailLoopBeginL_6                    // restart LoopL
TailLoopEndL_7:

SkipTailLoopL_8:

Summation_End_36:
s_setprio 0                                        // optimization store
/* endSummation: add vgpr [64...198) to pool */

/* Mapping of Acc register -> C Vgpr register */

/* Multiply MI out register with Alpha -> C Vgpr register */


/* shift vector components d1 */

v_mov_b32 v65, s[sgprWorkGroup1]                   // 
v_mul_i32_i24 v65, -0x80, v65                      // wg*MT
_v_add_co_u32 v65, vcc, s[sgprSizesFree+1], v65    // wgMT = Size - wg*MT
v_mov_b32 v66, 0x80                                // MT
v_min_u32 v65, v66, v65                            // wgMT = (wgMT < MT) ? wgMT : MT
v_lshrrev_b32 v64, 8, v[vgprSerial]                // v64 = v[vgprSerial] / 256
v_and_b32 v67, 0, v64                              // v67 = v64 % 1
v_lshrrev_b32 v64, 4, v65                          // v64 = v65 / 16
v_and_b32 v68, 0, v64                              // v68 = v64 % 1
v_cmp_eq_u32 s[54:55], v68, v67                    // wave_id == block_belong_to_wave?
v_cndmask_b32 v65, v66, v65, s[54:55]              // wgMT = (wgMT < MT) ? wgMT : MT

/* mbReg: which mb block need to shift, mb(matrixInstCoal(16) * VectorWidth(1)) */
v_lshrrev_b32 v66, 4, v65                          // v66 = v65 / 16
v_lshlrev_b32 v68, 0x0, v67                        // v68 = v67 * 1
_v_sub_u32 v66, v66, v68                           // 

/* gbReg: glvw block id */
v_lshrrev_b32 v68, 2, v65                          // v68 = v65 / 4

/* tgbReg: glvw block id */
v_lshrrev_b32 v64, 0, v[vgprSerial]                // v64 = v[vgprSerial] / 1
v_and_b32 v69, 15, v64                             // v69 = v64 % 16
                                                   // v69 = v69 * 1 (multiplier is 1, do nothing)
v_lshrrev_b32 v69, 2, v69                          // v69 = v69 / 4
v_lshlrev_b32 v67, 0x2, v67                        // v67 = v67 * 4
_v_add_co_u32 v69, vcc, v67, v69                   // tgbReg = (tid_coal * continOut) / GLVW
_v_sub_u32 v68, v68, v69                           // 

/* vwReg: glvw in which vw block? */
v_and_b32 v67, 0, v65                              // permute register between threads
v_lshrrev_b32 v67, 2, v67                          // permute register between threads

/* rReg : reminder of M_size % GlobalLoadVectorWidth */
v_and_b32 v69, 3, v65                              // v69 = v65 % 4
v_cmp_eq_u32 vcc, v69, 0x1                         // wgMT%VW == 1
s_cbranch_vccnz label_0037                         // branch to shift d1 r=1
v_cmp_eq_u32 vcc, v69, 0x2                         // wgMT%VW == 2
s_cbranch_vccnz label_0054                         // branch to shift d1 r=2
v_cmp_eq_u32 vcc, v69, 0x3                         // wgMT%VW == 3
s_cbranch_vccnz label_0071                         // branch to shift d1 r=3
s_branch label_0088                                // no shifting

/******************************************/
/* shift d1 r=1                           */
/******************************************/
label_0037:
v_cmp_eq_u32 vcc, v66, 0x0                         // 
s_cbranch_vccnz label_0038                         // branch to shift d1 r1 mb0
v_cmp_eq_u32 vcc, v66, 0x1                         // 
s_cbranch_vccnz label_0040                         // branch to shift d1 r1 mb1
v_cmp_eq_u32 vcc, v66, 0x2                         // 
s_cbranch_vccnz label_0042                         // branch to shift d1 r1 mb2
v_cmp_eq_u32 vcc, v66, 0x3                         // 
s_cbranch_vccnz label_0044                         // branch to shift d1 r1 mb3
v_cmp_eq_u32 vcc, v66, 0x4                         // 
s_cbranch_vccnz label_0046                         // branch to shift d1 r1 mb4
v_cmp_eq_u32 vcc, v66, 0x5                         // 
s_cbranch_vccnz label_0048                         // branch to shift d1 r1 mb5
v_cmp_eq_u32 vcc, v66, 0x6                         // 
s_cbranch_vccnz label_0050                         // branch to shift d1 r1 mb6
v_cmp_eq_u32 vcc, v66, 0x7                         // 
s_cbranch_vccnz label_0052                         // branch to shift d1 r1 mb7

/******************************************/
/* shift d1 r=2                           */
/******************************************/
label_0054:
v_cmp_eq_u32 vcc, v66, 0x0                         // 
s_cbranch_vccnz label_0055                         // branch to shift d1 r2 mb0
v_cmp_eq_u32 vcc, v66, 0x1                         // 
s_cbranch_vccnz label_0057                         // branch to shift d1 r2 mb1
v_cmp_eq_u32 vcc, v66, 0x2                         // 
s_cbranch_vccnz label_0059                         // branch to shift d1 r2 mb2
v_cmp_eq_u32 vcc, v66, 0x3                         // 
s_cbranch_vccnz label_0061                         // branch to shift d1 r2 mb3
v_cmp_eq_u32 vcc, v66, 0x4                         // 
s_cbranch_vccnz label_0063                         // branch to shift d1 r2 mb4
v_cmp_eq_u32 vcc, v66, 0x5                         // 
s_cbranch_vccnz label_0065                         // branch to shift d1 r2 mb5
v_cmp_eq_u32 vcc, v66, 0x6                         // 
s_cbranch_vccnz label_0067                         // branch to shift d1 r2 mb6
v_cmp_eq_u32 vcc, v66, 0x7                         // 
s_cbranch_vccnz label_0069                         // branch to shift d1 r2 mb7

/******************************************/
/* shift d1 r=3                           */
/******************************************/
label_0071:
v_cmp_eq_u32 vcc, v66, 0x0                         // 
s_cbranch_vccnz label_0072                         // branch to shift d1 r3 mb0
v_cmp_eq_u32 vcc, v66, 0x1                         // 
s_cbranch_vccnz label_0074                         // branch to shift d1 r3 mb1
v_cmp_eq_u32 vcc, v66, 0x2                         // 
s_cbranch_vccnz label_0076                         // branch to shift d1 r3 mb2
v_cmp_eq_u32 vcc, v66, 0x3                         // 
s_cbranch_vccnz label_0078                         // branch to shift d1 r3 mb3
v_cmp_eq_u32 vcc, v66, 0x4                         // 
s_cbranch_vccnz label_0080                         // branch to shift d1 r3 mb4
v_cmp_eq_u32 vcc, v66, 0x5                         // 
s_cbranch_vccnz label_0082                         // branch to shift d1 r3 mb5
v_cmp_eq_u32 vcc, v66, 0x6                         // 
s_cbranch_vccnz label_0084                         // branch to shift d1 r3 mb6
v_cmp_eq_u32 vcc, v66, 0x7                         // 
s_cbranch_vccnz label_0086                         // branch to shift d1 r3 mb7

/******************************************/
/* shift d1 r=1 mb=0                      */
/******************************************/
label_0038: // r1 mb0 
v_cmp_eq_u32 vcc, v67, 0x0                         // 
s_cbranch_vccnz label_0039                         // branch to shift d1 r1 mb0 vw0

/******************************************/
/* shift d1 r=1 mb=1                      */
/******************************************/
label_0040: // r1 mb1 
v_cmp_eq_u32 vcc, v67, 0x0                         // 
s_cbranch_vccnz label_0041                         // branch to shift d1 r1 mb1 vw0

/******************************************/
/* shift d1 r=1 mb=2                      */
/******************************************/
label_0042: // r1 mb2 
v_cmp_eq_u32 vcc, v67, 0x0                         // 
s_cbranch_vccnz label_0043                         // branch to shift d1 r1 mb2 vw0

/******************************************/
/* shift d1 r=1 mb=3                      */
/******************************************/
label_0044: // r1 mb3 
v_cmp_eq_u32 vcc, v67, 0x0                         // 
s_cbranch_vccnz label_0045                         // branch to shift d1 r1 mb3 vw0

/******************************************/
/* shift d1 r=1 mb=4                      */
/******************************************/
label_0046: // r1 mb4 
v_cmp_eq_u32 vcc, v67, 0x0                         // 
s_cbranch_vccnz label_0047                         // branch to shift d1 r1 mb4 vw0

/******************************************/
/* shift d1 r=1 mb=5                      */
/******************************************/
label_0048: // r1 mb5 
v_cmp_eq_u32 vcc, v67, 0x0                         // 
s_cbranch_vccnz label_0049                         // branch to shift d1 r1 mb5 vw0

/******************************************/
/* shift d1 r=1 mb=6                      */
/******************************************/
label_0050: // r1 mb6 
v_cmp_eq_u32 vcc, v67, 0x0                         // 
s_cbranch_vccnz label_0051                         // branch to shift d1 r1 mb6 vw0

/******************************************/
/* shift d1 r=1 mb=7                      */
/******************************************/
label_0052: // r1 mb7 
v_cmp_eq_u32 vcc, v67, 0x0                         // 
s_cbranch_vccnz label_0053                         // branch to shift d1 r1 mb7 vw0

/******************************************/
/* shift d1 r=2 mb=0                      */
/******************************************/
label_0055: // r2 mb0 
v_cmp_eq_u32 vcc, v67, 0x0                         // 
s_cbranch_vccnz label_0056                         // branch to shift d1 r2 mb0 vw0

/******************************************/
/* shift d1 r=2 mb=1                      */
/******************************************/
label_0057: // r2 mb1 
v_cmp_eq_u32 vcc, v67, 0x0                         // 
s_cbranch_vccnz label_0058                         // branch to shift d1 r2 mb1 vw0

/******************************************/
/* shift d1 r=2 mb=2                      */
/******************************************/
label_0059: // r2 mb2 
v_cmp_eq_u32 vcc, v67, 0x0                         // 
s_cbranch_vccnz label_0060                         // branch to shift d1 r2 mb2 vw0

/******************************************/
/* shift d1 r=2 mb=3                      */
/******************************************/
label_0061: // r2 mb3 
v_cmp_eq_u32 vcc, v67, 0x0                         // 
s_cbranch_vccnz label_0062                         // branch to shift d1 r2 mb3 vw0

/******************************************/
/* shift d1 r=2 mb=4                      */
/******************************************/
label_0063: // r2 mb4 
v_cmp_eq_u32 vcc, v67, 0x0                         // 
s_cbranch_vccnz label_0064                         // branch to shift d1 r2 mb4 vw0

/******************************************/
/* shift d1 r=2 mb=5                      */
/******************************************/
label_0065: // r2 mb5 
v_cmp_eq_u32 vcc, v67, 0x0                         // 
s_cbranch_vccnz label_0066                         // branch to shift d1 r2 mb5 vw0

/******************************************/
/* shift d1 r=2 mb=6                      */
/******************************************/
label_0067: // r2 mb6 
v_cmp_eq_u32 vcc, v67, 0x0                         // 
s_cbranch_vccnz label_0068                         // branch to shift d1 r2 mb6 vw0

/******************************************/
/* shift d1 r=2 mb=7                      */
/******************************************/
label_0069: // r2 mb7 
v_cmp_eq_u32 vcc, v67, 0x0                         // 
s_cbranch_vccnz label_0070                         // branch to shift d1 r2 mb7 vw0

/******************************************/
/* shift d1 r=3 mb=0                      */
/******************************************/
label_0072: // r3 mb0 
v_cmp_eq_u32 vcc, v67, 0x0                         // 
s_cbranch_vccnz label_0073                         // branch to shift d1 r3 mb0 vw0

/******************************************/
/* shift d1 r=3 mb=1                      */
/******************************************/
label_0074: // r3 mb1 
v_cmp_eq_u32 vcc, v67, 0x0                         // 
s_cbranch_vccnz label_0075                         // branch to shift d1 r3 mb1 vw0

/******************************************/
/* shift d1 r=3 mb=2                      */
/******************************************/
label_0076: // r3 mb2 
v_cmp_eq_u32 vcc, v67, 0x0                         // 
s_cbranch_vccnz label_0077                         // branch to shift d1 r3 mb2 vw0

/******************************************/
/* shift d1 r=3 mb=3                      */
/******************************************/
label_0078: // r3 mb3 
v_cmp_eq_u32 vcc, v67, 0x0                         // 
s_cbranch_vccnz label_0079                         // branch to shift d1 r3 mb3 vw0

/******************************************/
/* shift d1 r=3 mb=4                      */
/******************************************/
label_0080: // r3 mb4 
v_cmp_eq_u32 vcc, v67, 0x0                         // 
s_cbranch_vccnz label_0081                         // branch to shift d1 r3 mb4 vw0

/******************************************/
/* shift d1 r=3 mb=5                      */
/******************************************/
label_0082: // r3 mb5 
v_cmp_eq_u32 vcc, v67, 0x0                         // 
s_cbranch_vccnz label_0083                         // branch to shift d1 r3 mb5 vw0

/******************************************/
/* shift d1 r=3 mb=6                      */
/******************************************/
label_0084: // r3 mb6 
v_cmp_eq_u32 vcc, v67, 0x0                         // 
s_cbranch_vccnz label_0085                         // branch to shift d1 r3 mb6 vw0

/******************************************/
/* shift d1 r=3 mb=7                      */
/******************************************/
label_0086: // r3 mb7 
v_cmp_eq_u32 vcc, v67, 0x0                         // 
s_cbranch_vccnz label_0087                         // branch to shift d1 r3 mb7 vw0

/******************************************/
/* shift d1 r=1 mb=0 vw0                  */
/******************************************/
label_0039: // r1 mb0 vw0 
s_mov_b32 s54, 0                                   // 
_v_cmpx_eq_u32 s[54:55], v68, s54                  // is thread in edge glvw region
v_and_b32 v64, 63, v[vgprSerial]                   // permute register between threads
v_lshlrev_b32 v64, 2, v64                          // permute register between threads
ds_bpermute_b32 v0, v64, v0, offset:12             // permute edge values
s_waitcnt 0                                        // wait for swizzle operation
ds_bpermute_b32 v1, v64, v1, offset:12             // permute edge values
s_waitcnt 0                                        // wait for swizzle operation
	;; [unrolled: 2-line block ×8, first 2 shown]
s_mov_b64 s[54:55], 0xFFFFFFFFFFFFFFFF             // to restore all threads active
s_or_saveexec_b64 vcc, s[54:55]                    // all threads active
s_branch label_0088                                // done shifting


/******************************************/
/* shift d1 r=1 mb=1 vw0                  */
/******************************************/
label_0041: // r1 mb1 vw0 
s_mov_b32 s54, 4                                   // 
_v_cmpx_eq_u32 s[54:55], v68, s54                  // is thread in edge glvw region
v_and_b32 v64, 63, v[vgprSerial]                   // permute register between threads
v_lshlrev_b32 v64, 2, v64                          // permute register between threads
ds_bpermute_b32 v8, v64, v8, offset:12             // permute edge values
s_waitcnt 0                                        // wait for swizzle operation
ds_bpermute_b32 v9, v64, v9, offset:12             // permute edge values
s_waitcnt 0                                        // wait for swizzle operation
ds_bpermute_b32 v10, v64, v10, offset:12           // permute edge values
s_waitcnt 0                                        // wait for swizzle operation
ds_bpermute_b32 v11, v64, v11, offset:12           // permute edge values
	;; [unrolled: 2-line block ×6, first 2 shown]
s_waitcnt 0                                        // wait for swizzle operation
s_mov_b64 s[54:55], 0xFFFFFFFFFFFFFFFF             // to restore all threads active
s_or_saveexec_b64 vcc, s[54:55]                    // all threads active
s_branch label_0088                                // done shifting


/******************************************/
/* shift d1 r=1 mb=2 vw0                  */
/******************************************/
label_0043: // r1 mb2 vw0 
s_mov_b32 s54, 8                                   // 
_v_cmpx_eq_u32 s[54:55], v68, s54                  // is thread in edge glvw region
v_and_b32 v64, 63, v[vgprSerial]                   // permute register between threads
v_lshlrev_b32 v64, 2, v64                          // permute register between threads
ds_bpermute_b32 v16, v64, v16, offset:12           // permute edge values
s_waitcnt 0                                        // wait for swizzle operation
ds_bpermute_b32 v17, v64, v17, offset:12           // permute edge values
s_waitcnt 0                                        // wait for swizzle operation
	;; [unrolled: 2-line block ×8, first 2 shown]
s_mov_b64 s[54:55], 0xFFFFFFFFFFFFFFFF             // to restore all threads active
s_or_saveexec_b64 vcc, s[54:55]                    // all threads active
s_branch label_0088                                // done shifting


/******************************************/
/* shift d1 r=1 mb=3 vw0                  */
/******************************************/
label_0045: // r1 mb3 vw0 
s_mov_b32 s54, 12                                  // 
_v_cmpx_eq_u32 s[54:55], v68, s54                  // is thread in edge glvw region
v_and_b32 v64, 63, v[vgprSerial]                   // permute register between threads
v_lshlrev_b32 v64, 2, v64                          // permute register between threads
ds_bpermute_b32 v24, v64, v24, offset:12           // permute edge values
s_waitcnt 0                                        // wait for swizzle operation
ds_bpermute_b32 v25, v64, v25, offset:12           // permute edge values
s_waitcnt 0                                        // wait for swizzle operation
	;; [unrolled: 2-line block ×8, first 2 shown]
s_mov_b64 s[54:55], 0xFFFFFFFFFFFFFFFF             // to restore all threads active
s_or_saveexec_b64 vcc, s[54:55]                    // all threads active
s_branch label_0088                                // done shifting


/******************************************/
/* shift d1 r=1 mb=4 vw0                  */
/******************************************/
label_0047: // r1 mb4 vw0 
s_mov_b32 s54, 16                                  // 
_v_cmpx_eq_u32 s[54:55], v68, s54                  // is thread in edge glvw region
v_and_b32 v64, 63, v[vgprSerial]                   // permute register between threads
v_lshlrev_b32 v64, 2, v64                          // permute register between threads
ds_bpermute_b32 v32, v64, v32, offset:12           // permute edge values
s_waitcnt 0                                        // wait for swizzle operation
ds_bpermute_b32 v33, v64, v33, offset:12           // permute edge values
s_waitcnt 0                                        // wait for swizzle operation
	;; [unrolled: 2-line block ×8, first 2 shown]
s_mov_b64 s[54:55], 0xFFFFFFFFFFFFFFFF             // to restore all threads active
s_or_saveexec_b64 vcc, s[54:55]                    // all threads active
s_branch label_0088                                // done shifting


/******************************************/
/* shift d1 r=1 mb=5 vw0                  */
/******************************************/
label_0049: // r1 mb5 vw0 
s_mov_b32 s54, 20                                  // 
_v_cmpx_eq_u32 s[54:55], v68, s54                  // is thread in edge glvw region
v_and_b32 v64, 63, v[vgprSerial]                   // permute register between threads
v_lshlrev_b32 v64, 2, v64                          // permute register between threads
ds_bpermute_b32 v40, v64, v40, offset:12           // permute edge values
s_waitcnt 0                                        // wait for swizzle operation
ds_bpermute_b32 v41, v64, v41, offset:12           // permute edge values
s_waitcnt 0                                        // wait for swizzle operation
	;; [unrolled: 2-line block ×8, first 2 shown]
s_mov_b64 s[54:55], 0xFFFFFFFFFFFFFFFF             // to restore all threads active
s_or_saveexec_b64 vcc, s[54:55]                    // all threads active
s_branch label_0088                                // done shifting


/******************************************/
/* shift d1 r=1 mb=6 vw0                  */
/******************************************/
label_0051: // r1 mb6 vw0 
s_mov_b32 s54, 24                                  // 
_v_cmpx_eq_u32 s[54:55], v68, s54                  // is thread in edge glvw region
v_and_b32 v64, 63, v[vgprSerial]                   // permute register between threads
v_lshlrev_b32 v64, 2, v64                          // permute register between threads
ds_bpermute_b32 v48, v64, v48, offset:12           // permute edge values
s_waitcnt 0                                        // wait for swizzle operation
ds_bpermute_b32 v49, v64, v49, offset:12           // permute edge values
s_waitcnt 0                                        // wait for swizzle operation
ds_bpermute_b32 v50, v64, v50, offset:12           // permute edge values
s_waitcnt 0                                        // wait for swizzle operation
ds_bpermute_b32 v51, v64, v51, offset:12           // permute edge values
s_waitcnt 0                                        // wait for swizzle operation
ds_bpermute_b32 v52, v64, v52, offset:12           // permute edge values
s_waitcnt 0                                        // wait for swizzle operation
ds_bpermute_b32 v53, v64, v53, offset:12           // permute edge values
s_waitcnt 0                                        // wait for swizzle operation
ds_bpermute_b32 v54, v64, v54, offset:12           // permute edge values
s_waitcnt 0                                        // wait for swizzle operation
ds_bpermute_b32 v55, v64, v55, offset:12           // permute edge values
s_waitcnt 0                                        // wait for swizzle operation
s_mov_b64 s[54:55], 0xFFFFFFFFFFFFFFFF             // to restore all threads active
s_or_saveexec_b64 vcc, s[54:55]                    // all threads active
s_branch label_0088                                // done shifting


/******************************************/
/* shift d1 r=1 mb=7 vw0                  */
/******************************************/
label_0053: // r1 mb7 vw0 
s_mov_b32 s54, 28                                  // 
_v_cmpx_eq_u32 s[54:55], v68, s54                  // is thread in edge glvw region
v_and_b32 v64, 63, v[vgprSerial]                   // permute register between threads
v_lshlrev_b32 v64, 2, v64                          // permute register between threads
ds_bpermute_b32 v56, v64, v56, offset:12           // permute edge values
s_waitcnt 0                                        // wait for swizzle operation
ds_bpermute_b32 v57, v64, v57, offset:12           // permute edge values
s_waitcnt 0                                        // wait for swizzle operation
ds_bpermute_b32 v58, v64, v58, offset:12           // permute edge values
s_waitcnt 0                                        // wait for swizzle operation
ds_bpermute_b32 v59, v64, v59, offset:12           // permute edge values
s_waitcnt 0                                        // wait for swizzle operation
ds_bpermute_b32 v60, v64, v60, offset:12           // permute edge values
s_waitcnt 0                                        // wait for swizzle operation
ds_bpermute_b32 v61, v64, v61, offset:12           // permute edge values
s_waitcnt 0                                        // wait for swizzle operation
ds_bpermute_b32 v62, v64, v62, offset:12           // permute edge values
s_waitcnt 0                                        // wait for swizzle operation
ds_bpermute_b32 v63, v64, v63, offset:12           // permute edge values
s_waitcnt 0                                        // wait for swizzle operation
s_mov_b64 s[54:55], 0xFFFFFFFFFFFFFFFF             // to restore all threads active
s_or_saveexec_b64 vcc, s[54:55]                    // all threads active
s_branch label_0088                                // done shifting


/******************************************/
/* shift d1 r=2 mb=0 vw0                  */
/******************************************/
label_0056: // r2 mb0 vw0 
s_mov_b32 s54, 0                                   // 
_v_cmpx_eq_u32 s[54:55], v68, s54                  // is thread in edge glvw region
v_and_b32 v64, 63, v[vgprSerial]                   // permute register between threads
v_lshlrev_b32 v64, 2, v64                          // permute register between threads
ds_bpermute_b32 v0, v64, v0, offset:8              // permute edge values
s_waitcnt 0                                        // wait for swizzle operation
ds_bpermute_b32 v1, v64, v1, offset:8              // permute edge values
s_waitcnt 0                                        // wait for swizzle operation
	;; [unrolled: 2-line block ×8, first 2 shown]
s_mov_b64 s[54:55], 0xFFFFFFFFFFFFFFFF             // to restore all threads active
s_or_saveexec_b64 vcc, s[54:55]                    // all threads active
s_branch label_0088                                // done shifting


/******************************************/
/* shift d1 r=2 mb=1 vw0                  */
/******************************************/
label_0058: // r2 mb1 vw0 
s_mov_b32 s54, 4                                   // 
_v_cmpx_eq_u32 s[54:55], v68, s54                  // is thread in edge glvw region
v_and_b32 v64, 63, v[vgprSerial]                   // permute register between threads
v_lshlrev_b32 v64, 2, v64                          // permute register between threads
ds_bpermute_b32 v8, v64, v8, offset:8              // permute edge values
s_waitcnt 0                                        // wait for swizzle operation
ds_bpermute_b32 v9, v64, v9, offset:8              // permute edge values
s_waitcnt 0                                        // wait for swizzle operation
ds_bpermute_b32 v10, v64, v10, offset:8            // permute edge values
s_waitcnt 0                                        // wait for swizzle operation
ds_bpermute_b32 v11, v64, v11, offset:8            // permute edge values
	;; [unrolled: 2-line block ×6, first 2 shown]
s_waitcnt 0                                        // wait for swizzle operation
s_mov_b64 s[54:55], 0xFFFFFFFFFFFFFFFF             // to restore all threads active
s_or_saveexec_b64 vcc, s[54:55]                    // all threads active
s_branch label_0088                                // done shifting


/******************************************/
/* shift d1 r=2 mb=2 vw0                  */
/******************************************/
label_0060: // r2 mb2 vw0 
s_mov_b32 s54, 8                                   // 
_v_cmpx_eq_u32 s[54:55], v68, s54                  // is thread in edge glvw region
v_and_b32 v64, 63, v[vgprSerial]                   // permute register between threads
v_lshlrev_b32 v64, 2, v64                          // permute register between threads
ds_bpermute_b32 v16, v64, v16, offset:8            // permute edge values
s_waitcnt 0                                        // wait for swizzle operation
ds_bpermute_b32 v17, v64, v17, offset:8            // permute edge values
s_waitcnt 0                                        // wait for swizzle operation
	;; [unrolled: 2-line block ×8, first 2 shown]
s_mov_b64 s[54:55], 0xFFFFFFFFFFFFFFFF             // to restore all threads active
s_or_saveexec_b64 vcc, s[54:55]                    // all threads active
s_branch label_0088                                // done shifting


/******************************************/
/* shift d1 r=2 mb=3 vw0                  */
/******************************************/
label_0062: // r2 mb3 vw0 
s_mov_b32 s54, 12                                  // 
_v_cmpx_eq_u32 s[54:55], v68, s54                  // is thread in edge glvw region
v_and_b32 v64, 63, v[vgprSerial]                   // permute register between threads
v_lshlrev_b32 v64, 2, v64                          // permute register between threads
ds_bpermute_b32 v24, v64, v24, offset:8            // permute edge values
s_waitcnt 0                                        // wait for swizzle operation
ds_bpermute_b32 v25, v64, v25, offset:8            // permute edge values
s_waitcnt 0                                        // wait for swizzle operation
	;; [unrolled: 2-line block ×8, first 2 shown]
s_mov_b64 s[54:55], 0xFFFFFFFFFFFFFFFF             // to restore all threads active
s_or_saveexec_b64 vcc, s[54:55]                    // all threads active
s_branch label_0088                                // done shifting


/******************************************/
/* shift d1 r=2 mb=4 vw0                  */
/******************************************/
label_0064: // r2 mb4 vw0 
s_mov_b32 s54, 16                                  // 
_v_cmpx_eq_u32 s[54:55], v68, s54                  // is thread in edge glvw region
v_and_b32 v64, 63, v[vgprSerial]                   // permute register between threads
v_lshlrev_b32 v64, 2, v64                          // permute register between threads
ds_bpermute_b32 v32, v64, v32, offset:8            // permute edge values
s_waitcnt 0                                        // wait for swizzle operation
ds_bpermute_b32 v33, v64, v33, offset:8            // permute edge values
s_waitcnt 0                                        // wait for swizzle operation
	;; [unrolled: 2-line block ×8, first 2 shown]
s_mov_b64 s[54:55], 0xFFFFFFFFFFFFFFFF             // to restore all threads active
s_or_saveexec_b64 vcc, s[54:55]                    // all threads active
s_branch label_0088                                // done shifting


/******************************************/
/* shift d1 r=2 mb=5 vw0                  */
/******************************************/
label_0066: // r2 mb5 vw0 
s_mov_b32 s54, 20                                  // 
_v_cmpx_eq_u32 s[54:55], v68, s54                  // is thread in edge glvw region
v_and_b32 v64, 63, v[vgprSerial]                   // permute register between threads
v_lshlrev_b32 v64, 2, v64                          // permute register between threads
ds_bpermute_b32 v40, v64, v40, offset:8            // permute edge values
s_waitcnt 0                                        // wait for swizzle operation
ds_bpermute_b32 v41, v64, v41, offset:8            // permute edge values
s_waitcnt 0                                        // wait for swizzle operation
	;; [unrolled: 2-line block ×8, first 2 shown]
s_mov_b64 s[54:55], 0xFFFFFFFFFFFFFFFF             // to restore all threads active
s_or_saveexec_b64 vcc, s[54:55]                    // all threads active
s_branch label_0088                                // done shifting


/******************************************/
/* shift d1 r=2 mb=6 vw0                  */
/******************************************/
label_0068: // r2 mb6 vw0 
s_mov_b32 s54, 24                                  // 
_v_cmpx_eq_u32 s[54:55], v68, s54                  // is thread in edge glvw region
v_and_b32 v64, 63, v[vgprSerial]                   // permute register between threads
v_lshlrev_b32 v64, 2, v64                          // permute register between threads
ds_bpermute_b32 v48, v64, v48, offset:8            // permute edge values
s_waitcnt 0                                        // wait for swizzle operation
ds_bpermute_b32 v49, v64, v49, offset:8            // permute edge values
s_waitcnt 0                                        // wait for swizzle operation
	;; [unrolled: 2-line block ×8, first 2 shown]
s_mov_b64 s[54:55], 0xFFFFFFFFFFFFFFFF             // to restore all threads active
s_or_saveexec_b64 vcc, s[54:55]                    // all threads active
s_branch label_0088                                // done shifting


/******************************************/
/* shift d1 r=2 mb=7 vw0                  */
/******************************************/
label_0070: // r2 mb7 vw0 
s_mov_b32 s54, 28                                  // 
_v_cmpx_eq_u32 s[54:55], v68, s54                  // is thread in edge glvw region
v_and_b32 v64, 63, v[vgprSerial]                   // permute register between threads
v_lshlrev_b32 v64, 2, v64                          // permute register between threads
ds_bpermute_b32 v56, v64, v56, offset:8            // permute edge values
s_waitcnt 0                                        // wait for swizzle operation
ds_bpermute_b32 v57, v64, v57, offset:8            // permute edge values
s_waitcnt 0                                        // wait for swizzle operation
	;; [unrolled: 2-line block ×8, first 2 shown]
s_mov_b64 s[54:55], 0xFFFFFFFFFFFFFFFF             // to restore all threads active
s_or_saveexec_b64 vcc, s[54:55]                    // all threads active
s_branch label_0088                                // done shifting


/******************************************/
/* shift d1 r=3 mb=0 vw0                  */
/******************************************/
label_0073: // r3 mb0 vw0 
s_mov_b32 s54, 0                                   // 
_v_cmpx_eq_u32 s[54:55], v68, s54                  // is thread in edge glvw region
v_and_b32 v64, 63, v[vgprSerial]                   // permute register between threads
v_lshlrev_b32 v64, 2, v64                          // permute register between threads
ds_bpermute_b32 v0, v64, v0, offset:4              // permute edge values
s_waitcnt 0                                        // wait for swizzle operation
ds_bpermute_b32 v1, v64, v1, offset:4              // permute edge values
s_waitcnt 0                                        // wait for swizzle operation
	;; [unrolled: 2-line block ×8, first 2 shown]
s_mov_b64 s[54:55], 0xFFFFFFFFFFFFFFFF             // to restore all threads active
s_or_saveexec_b64 vcc, s[54:55]                    // all threads active
s_branch label_0088                                // done shifting


/******************************************/
/* shift d1 r=3 mb=1 vw0                  */
/******************************************/
label_0075: // r3 mb1 vw0 
s_mov_b32 s54, 4                                   // 
_v_cmpx_eq_u32 s[54:55], v68, s54                  // is thread in edge glvw region
v_and_b32 v64, 63, v[vgprSerial]                   // permute register between threads
v_lshlrev_b32 v64, 2, v64                          // permute register between threads
ds_bpermute_b32 v8, v64, v8, offset:4              // permute edge values
s_waitcnt 0                                        // wait for swizzle operation
ds_bpermute_b32 v9, v64, v9, offset:4              // permute edge values
s_waitcnt 0                                        // wait for swizzle operation
ds_bpermute_b32 v10, v64, v10, offset:4            // permute edge values
s_waitcnt 0                                        // wait for swizzle operation
ds_bpermute_b32 v11, v64, v11, offset:4            // permute edge values
	;; [unrolled: 2-line block ×6, first 2 shown]
s_waitcnt 0                                        // wait for swizzle operation
s_mov_b64 s[54:55], 0xFFFFFFFFFFFFFFFF             // to restore all threads active
s_or_saveexec_b64 vcc, s[54:55]                    // all threads active
s_branch label_0088                                // done shifting


/******************************************/
/* shift d1 r=3 mb=2 vw0                  */
/******************************************/
label_0077: // r3 mb2 vw0 
s_mov_b32 s54, 8                                   // 
_v_cmpx_eq_u32 s[54:55], v68, s54                  // is thread in edge glvw region
v_and_b32 v64, 63, v[vgprSerial]                   // permute register between threads
v_lshlrev_b32 v64, 2, v64                          // permute register between threads
ds_bpermute_b32 v16, v64, v16, offset:4            // permute edge values
s_waitcnt 0                                        // wait for swizzle operation
ds_bpermute_b32 v17, v64, v17, offset:4            // permute edge values
s_waitcnt 0                                        // wait for swizzle operation
	;; [unrolled: 2-line block ×8, first 2 shown]
s_mov_b64 s[54:55], 0xFFFFFFFFFFFFFFFF             // to restore all threads active
s_or_saveexec_b64 vcc, s[54:55]                    // all threads active
s_branch label_0088                                // done shifting


/******************************************/
/* shift d1 r=3 mb=3 vw0                  */
/******************************************/
label_0079: // r3 mb3 vw0 
s_mov_b32 s54, 12                                  // 
_v_cmpx_eq_u32 s[54:55], v68, s54                  // is thread in edge glvw region
v_and_b32 v64, 63, v[vgprSerial]                   // permute register between threads
v_lshlrev_b32 v64, 2, v64                          // permute register between threads
ds_bpermute_b32 v24, v64, v24, offset:4            // permute edge values
s_waitcnt 0                                        // wait for swizzle operation
ds_bpermute_b32 v25, v64, v25, offset:4            // permute edge values
s_waitcnt 0                                        // wait for swizzle operation
	;; [unrolled: 2-line block ×8, first 2 shown]
s_mov_b64 s[54:55], 0xFFFFFFFFFFFFFFFF             // to restore all threads active
s_or_saveexec_b64 vcc, s[54:55]                    // all threads active
s_branch label_0088                                // done shifting


/******************************************/
/* shift d1 r=3 mb=4 vw0                  */
/******************************************/
label_0081: // r3 mb4 vw0 
s_mov_b32 s54, 16                                  // 
_v_cmpx_eq_u32 s[54:55], v68, s54                  // is thread in edge glvw region
v_and_b32 v64, 63, v[vgprSerial]                   // permute register between threads
v_lshlrev_b32 v64, 2, v64                          // permute register between threads
ds_bpermute_b32 v32, v64, v32, offset:4            // permute edge values
s_waitcnt 0                                        // wait for swizzle operation
ds_bpermute_b32 v33, v64, v33, offset:4            // permute edge values
s_waitcnt 0                                        // wait for swizzle operation
ds_bpermute_b32 v34, v64, v34, offset:4            // permute edge values
s_waitcnt 0                                        // wait for swizzle operation
ds_bpermute_b32 v35, v64, v35, offset:4            // permute edge values
s_waitcnt 0                                        // wait for swizzle operation
ds_bpermute_b32 v36, v64, v36, offset:4            // permute edge values
s_waitcnt 0                                        // wait for swizzle operation
ds_bpermute_b32 v37, v64, v37, offset:4            // permute edge values
s_waitcnt 0                                        // wait for swizzle operation
ds_bpermute_b32 v38, v64, v38, offset:4            // permute edge values
s_waitcnt 0                                        // wait for swizzle operation
ds_bpermute_b32 v39, v64, v39, offset:4            // permute edge values
s_waitcnt 0                                        // wait for swizzle operation
s_mov_b64 s[54:55], 0xFFFFFFFFFFFFFFFF             // to restore all threads active
s_or_saveexec_b64 vcc, s[54:55]                    // all threads active
s_branch label_0088                                // done shifting


/******************************************/
/* shift d1 r=3 mb=5 vw0                  */
/******************************************/
label_0083: // r3 mb5 vw0 
s_mov_b32 s54, 20                                  // 
_v_cmpx_eq_u32 s[54:55], v68, s54                  // is thread in edge glvw region
v_and_b32 v64, 63, v[vgprSerial]                   // permute register between threads
v_lshlrev_b32 v64, 2, v64                          // permute register between threads
ds_bpermute_b32 v40, v64, v40, offset:4            // permute edge values
s_waitcnt 0                                        // wait for swizzle operation
ds_bpermute_b32 v41, v64, v41, offset:4            // permute edge values
s_waitcnt 0                                        // wait for swizzle operation
	;; [unrolled: 2-line block ×8, first 2 shown]
s_mov_b64 s[54:55], 0xFFFFFFFFFFFFFFFF             // to restore all threads active
s_or_saveexec_b64 vcc, s[54:55]                    // all threads active
s_branch label_0088                                // done shifting


/******************************************/
/* shift d1 r=3 mb=6 vw0                  */
/******************************************/
label_0085: // r3 mb6 vw0 
s_mov_b32 s54, 24                                  // 
_v_cmpx_eq_u32 s[54:55], v68, s54                  // is thread in edge glvw region
v_and_b32 v64, 63, v[vgprSerial]                   // permute register between threads
v_lshlrev_b32 v64, 2, v64                          // permute register between threads
ds_bpermute_b32 v48, v64, v48, offset:4            // permute edge values
s_waitcnt 0                                        // wait for swizzle operation
ds_bpermute_b32 v49, v64, v49, offset:4            // permute edge values
s_waitcnt 0                                        // wait for swizzle operation
	;; [unrolled: 2-line block ×8, first 2 shown]
s_mov_b64 s[54:55], 0xFFFFFFFFFFFFFFFF             // to restore all threads active
s_or_saveexec_b64 vcc, s[54:55]                    // all threads active
s_branch label_0088                                // done shifting


/******************************************/
/* shift d1 r=3 mb=7 vw0                  */
/******************************************/
label_0087: // r3 mb7 vw0 
s_mov_b32 s54, 28                                  // 
_v_cmpx_eq_u32 s[54:55], v68, s54                  // is thread in edge glvw region
v_and_b32 v64, 63, v[vgprSerial]                   // permute register between threads
v_lshlrev_b32 v64, 2, v64                          // permute register between threads
ds_bpermute_b32 v56, v64, v56, offset:4            // permute edge values
s_waitcnt 0                                        // wait for swizzle operation
ds_bpermute_b32 v57, v64, v57, offset:4            // permute edge values
s_waitcnt 0                                        // wait for swizzle operation
	;; [unrolled: 2-line block ×8, first 2 shown]
s_mov_b64 s[54:55], 0xFFFFFFFFFFFFFFFF             // to restore all threads active
s_or_saveexec_b64 vcc, s[54:55]                    // all threads active
s_branch label_0088                                // done shifting

label_0088: // end shift0


	;; [unrolled: 1-line block ×3, first 2 shown]
/* not-LocalSplitU: global write indices */

/* computeStoreVgprs */
v_lshrrev_b32 v68, 6, v[vgprSerial]                // v68 = v[vgprSerial] / 64
v_lshrrev_b32 v65, 2, v68                          // v65 = v68 / 4
v_mul_lo_u32 v65, 0x10, v65                        // wave coordination offset 1
v_and_b32 v69, 15, v[vgprSerial]                   // v69 = v[vgprSerial] % 16
_v_add_lshl_u32 v65, v69, v65, 0                   // coordination 1 = vwb *(wave_id1 + tid1)
v_mul_lo_u32 v66, v65, s[sgprStrideC1J]            //  offset 1
v_mul_lo_u32 v67, v65, s[sgprStrideD1J]            //  offset 1
v_and_b32 v64, 63, v[vgprSerial]                   // v64 = v[vgprSerial] % 64
v_lshrrev_b32 v64, 4, v64                          // v64 = v64 / 16
v_lshlrev_b32 v64, 0x2, v64                        // thread0 * continuous_output
v_and_b32 v69, 3, v68                              // v69 = v68 % 4
v_mul_lo_u32 v69, 0x10, v69                        // wave coordination offset 0
_v_add_lshl_u32 v64, v69, v64, 0                   // coordination 0 = vwa *(wave_id0 + tid0)
s_mul_i32 s53, 128, s[sgprWorkGroup0]              // wgp0 * MT0
_v_add_u32 v64, s53, v64                           // coord 0 = (tid0/MI_m)*4 + waveG0*MIB_m + MT0*SG0
s_mul_i32 s53, 128, s[sgprWorkGroup1]              // wgp1 * MT1
_v_add_u32 v65, s53, v65                           // coord 1 = (tid0%MI_m) + waveG1*MIB_n + MT1*SG1


/* not-LocalSplitU: global write */

s_cmpk_eq_u32 s[sgprBeta], 0x0                     // Beta == 0
s_cbranch_scc0 GW_Beta_119                         // Branch if Beta is not zero

s_and_b32 s54, 127, s[sgprSizeI]                   // s54 = s[sgprSizeI] % 128
s_add_u32 s55, -0x1, s[sgprNumWorkGroups0]         // 
s_cmp_ge_u32 s[sgprWorkGroup0], s55                // wg0 >= nwg0-1 ?
s_cselect_b32 s54, s54, 0                          // set rMT0
s_cmpk_gt_u32 s54, 0x0                             // rMT0 > 0
s_cbranch_scc1 GW_B0_E1_110                        // jump if edges required
s_and_b32 s54, 127, s[sgprSizeJ]                   // s54 = s[sgprSizeJ] % 128
s_add_u32 s55, -0x1, s[sgprNumWorkGroups1]         // 
s_cmp_ge_u32 s[sgprWorkGroup1], s55                // wg1 >= nwg1-1
s_cselect_b32 s54, s54, 0                          // set rMT1
s_cmpk_gt_u32 s54, 0x0                             // rMT1 > 0
s_cbranch_scc1 GW_B0_E1_110                        // jump if edges required
GW_B0_E0_107:

/* edge=0, allocate 2 sgpr. perBatchTmpS=2 perBatchMaskS=0 perElementMaskS=0 elementsPerBatch=16 */
/* optSingleColVgpr=1 optSharedColVgpr=0 optSGPRUsage=BufferLoad_Mask optSrdIncForRow=1 */
s_sleep 3 // optimization: sync and wait
s_barrier

/******************************************/
/* Global Write Alpha Batch #0 (d1,d0,vc1,vc0) = */
/*    (0,0,0,0:vw4); (0,1,0,0:vw4); (1,0,0,0:vw4); (1,1,0,0:vw4); (2,0,0,0:vw4); (2,1,0,0:vw4); (3,0,0,0:vw4); (3,1,0,0:vw4); (4,0,0,0:vw4); (4,1,0,0:vw4); (5,0,0,0:vw4); (5,1,0,0:vw4); (6,0,0,0:vw4); (6,1,0,0:vw4); (7,0,0,0:vw4); (7,1,0,0:vw4) */
/******************************************/

/* calc coords, apply mask, and issue loads (if necessary) */
/* (d1,vc1,d0,vc0)=(0,0,0,0) */
/* (d1,vc1,d0,vc0)=(0,0,1,0) */
	;; [unrolled: 1-line block ×16, first 2 shown]
_v_add_lshl_u32 v70, v67, v64, 0x2                 // optSingleColVgpr scaleToBpe: sharedAddrVgpr <- cinRowPtr + coord0, scaled by BPE. BSHERE:coord0=64, coord0Vgpr=64

/* rC *= alpha batchElements=[(0, 0, 0, 0), (0, 1, 0, 0), (1, 0, 0, 0), (1, 1, 0, 0), (2, 0, 0, 0), (2, 1, 0, 0), (3, 0, 0, 0), (3, 1, 0, 0), (4, 0, 0, 0), (4, 1, 0, 0), (5, 0, 0, 0), (5, 1, 0, 0), (6, 0, 0, 0), (6, 1, 0, 0), (7, 0, 0, 0), (7, 1, 0, 0)] */
v_mul_f32 v[vgprValuC+72], s[sgprAlpha], v[vgprValuC+0] // Multiply MI out reg with alpha
v_mul_f32 v[vgprValuC+73], s[sgprAlpha], v[vgprValuC+1] // Multiply MI out reg with alpha
	;; [unrolled: 1-line block ×64, first 2 shown]

/* apply mask, calc new C and issue writes */
_buffer_store_b128 v[72:75], v70, s[sgprSrdD:sgprSrdD+3], 0, offen, offset:0,  sc0 sc1 // store D
_buffer_store_b128 v[76:79], v70, s[sgprSrdD:sgprSrdD+3], 0, offen, offset:256,  sc0 sc1 // store D
s_mul_i32 s54, s[sgprStrideD1J], 64                // scale StrideD *= numRows(16) * bpe
s_add_u32  s[sgprSrdD+0], s[sgprSrdD+0], s54       // incToNextRow: gra SRD += inc(lower)
s_addc_u32  s[sgprSrdD+1], s[sgprSrdD+1], 0        // incToNextRow: gra SRD += inc(upper)
_buffer_store_b128 v[80:83], v70, s[sgprSrdD:sgprSrdD+3], 0, offen, offset:0,  sc0 sc1 // store D
_buffer_store_b128 v[84:87], v70, s[sgprSrdD:sgprSrdD+3], 0, offen, offset:256,  sc0 sc1 // store D
s_mul_i32 s54, s[sgprStrideD1J], 64                // scale StrideD *= numRows(16) * bpe
s_add_u32  s[sgprSrdD+0], s[sgprSrdD+0], s54       // incToNextRow: gra SRD += inc(lower)
s_addc_u32  s[sgprSrdD+1], s[sgprSrdD+1], 0        // incToNextRow: gra SRD += inc(upper)
	;; [unrolled: 5-line block ×7, first 2 shown]
_buffer_store_b128 v[128:131], v70, s[sgprSrdD:sgprSrdD+3], 0, offen, offset:0,  sc0 sc1 // store D
_buffer_store_b128 v[132:135], v70, s[sgprSrdD:sgprSrdD+3], 0, offen, offset:256,  sc0 sc1 // store D
s_nop 0                                            // 1 wait state required when next inst writes vgprs held by previous dwordx4 store inst
s_branch label_GW_End_118                          // jump to end
GW_B0_E1_110:

/* edge=1, allocate 6 sgpr. perBatchTmpS=4 perBatchMaskS=2 perElementMaskS=0 elementsPerBatch=16 */
/* optSingleColVgpr=0 optSharedColVgpr=0 optSGPRUsage=BufferLoad_Edge_Mask optSrdIncForRow=0 */
s_sleep 3 // optimization: sync and wait
s_barrier

/******************************************/
/* Global Write Alpha Edge Batch #0 (d1,d0,vc1,vc0) = */
/*    (0,0,0,0:vw1); (0,0,0,1:vw1); (0,0,0,2:vw1); (0,0,0,3:vw1); (0,1,0,0:vw1); (0,1,0,1:vw1); (0,1,0,2:vw1); (0,1,0,3:vw1); (1,0,0,0:vw1); (1,0,0,1:vw1); (1,0,0,2:vw1); (1,0,0,3:vw1); (1,1,0,0:vw1); (1,1,0,1:vw1); (1,1,0,2:vw1); (1,1,0,3:vw1) */
/******************************************/

/* calc coords, apply mask, and issue loads (if necessary) */
/* (d1,vc1,d0,vc0)=(0,0,0,0) */
v_cmp_lt_u32 s[54:55], v64, s[sgprSizeI]           // coord0 < size0
v_cmp_lt_u32 s[58:59], v65, s[sgprSizeJ]           // coord1 < size1
s_and_b64 s[58:59], s[54:55], s[58:59]             // in0 && in1
_v_add_lshl_u32 v70, v67, v64, 0x2                 // scaleToBpe: accumulate d0 lower and *= bpe into Cin addr
v_cndmask_b32 v70, -1, v70, s[58:59]               // LDD clip if OOB. offset
/* (d1,vc1,d0,vc0)=(0,0,0,1) */
_v_add_co_u32 v68, vcc, v64, 1                     // coord0.1: coord0 += d0*sg0*VW + vc0
v_cmp_lt_u32 s[54:55], v68, s[sgprSizeI]           // coord0 < size0
v_cmp_lt_u32 s[58:59], v65, s[sgprSizeJ]           // coord1 < size1
s_and_b64 s[58:59], s[54:55], s[58:59]             // in0 && in1
_v_add_lshl_u32 v73, v67, v68, 0x2                 // scaleToBpe: accumulate d0 lower and *= bpe into Cin addr
v_cndmask_b32 v73, -1, v73, s[58:59]               // LDD clip if OOB. offset
/* (d1,vc1,d0,vc0)=(0,0,0,2) */
_v_add_co_u32 v68, vcc, v64, 2                     // coord0.1: coord0 += d0*sg0*VW + vc0
	;; [unrolled: 7-line block ×3, first 2 shown]
v_cmp_lt_u32 s[54:55], v68, s[sgprSizeI]           // coord0 < size0
v_cmp_lt_u32 s[58:59], v65, s[sgprSizeJ]           // coord1 < size1
s_and_b64 s[58:59], s[54:55], s[58:59]             // in0 && in1
_v_add_lshl_u32 v79, v67, v68, 0x2                 // scaleToBpe: accumulate d0 lower and *= bpe into Cin addr
v_cndmask_b32 v79, -1, v79, s[58:59]               // LDD clip if OOB. offset
/* (d1,vc1,d0,vc0)=(0,0,1,0) */
_v_add_co_u32 v68, vcc, v64, 64                    // coord0.1: coord0 += d0*sg0*VW + vc0
v_cmp_lt_u32 s[54:55], v68, s[sgprSizeI]           // coord0 < size0
v_cmp_lt_u32 s[58:59], v65, s[sgprSizeJ]           // coord1 < size1
s_and_b64 s[58:59], s[54:55], s[58:59]             // in0 && in1
_v_add_lshl_u32 v82, v67, v68, 0x2                 // scaleToBpe: accumulate d0 lower and *= bpe into Cin addr
v_cndmask_b32 v82, -1, v82, s[58:59]               // LDD clip if OOB. offset
/* (d1,vc1,d0,vc0)=(0,0,1,1) */
s_mov_b32 s54, 65                                  // coordOffset0 d0=1 vc0=1
_v_add_co_u32 v68, vcc, v64, s54                   // coord0.2: coord0 += d0*sg0*VW + vc0
v_cmp_lt_u32 s[54:55], v68, s[sgprSizeI]           // coord0 < size0
v_cmp_lt_u32 s[58:59], v65, s[sgprSizeJ]           // coord1 < size1
s_and_b64 s[58:59], s[54:55], s[58:59]             // in0 && in1
_v_add_lshl_u32 v85, v67, v68, 0x2                 // scaleToBpe: accumulate d0 lower and *= bpe into Cin addr
v_cndmask_b32 v85, -1, v85, s[58:59]               // LDD clip if OOB. offset
/* (d1,vc1,d0,vc0)=(0,0,1,2) */
s_mov_b32 s54, 66                                  // coordOffset0 d0=1 vc0=2
_v_add_co_u32 v68, vcc, v64, s54                   // coord0.2: coord0 += d0*sg0*VW + vc0
v_cmp_lt_u32 s[54:55], v68, s[sgprSizeI]           // coord0 < size0
v_cmp_lt_u32 s[58:59], v65, s[sgprSizeJ]           // coord1 < size1
s_and_b64 s[58:59], s[54:55], s[58:59]             // in0 && in1
_v_add_lshl_u32 v88, v67, v68, 0x2                 // scaleToBpe: accumulate d0 lower and *= bpe into Cin addr
v_cndmask_b32 v88, -1, v88, s[58:59]               // LDD clip if OOB. offset
/* (d1,vc1,d0,vc0)=(0,0,1,3) */
s_mov_b32 s54, 67                                  // coordOffset0 d0=1 vc0=3
_v_add_co_u32 v68, vcc, v64, s54                   // coord0.2: coord0 += d0*sg0*VW + vc0
v_cmp_lt_u32 s[54:55], v68, s[sgprSizeI]           // coord0 < size0
v_cmp_lt_u32 s[58:59], v65, s[sgprSizeJ]           // coord1 < size1
s_and_b64 s[58:59], s[54:55], s[58:59]             // in0 && in1
_v_add_lshl_u32 v91, v67, v68, 0x2                 // scaleToBpe: accumulate d0 lower and *= bpe into Cin addr
v_cndmask_b32 v91, -1, v91, s[58:59]               // LDD clip if OOB. offset
/* (d1,vc1,d0,vc0)=(1,0,0,0) */
_v_add_co_u32 v65, vcc, v65, 16                    // coord1.1: coord1Vgpr += d1*sg1*VW + vc1

/* Fix for UseInitialStridesCD, emitAddressSetupCode */
s_mul_i32 s54, s[sgprStrideC1J], 16                // scale stride
_v_add_u32 v66, v66, s54                           // ROWINC- Move cinRowPtr to next row
s_mul_i32 s54, s[sgprStrideD1J], 16                // scale stride
_v_add_u32 v67, v67, s54                           // Move coutRowPtr to next row
v_cmp_lt_u32 s[54:55], v64, s[sgprSizeI]           // coord0 < size0
v_cmp_lt_u32 s[58:59], v65, s[sgprSizeJ]           // coord1 < size1
s_and_b64 s[58:59], s[54:55], s[58:59]             // in0 && in1
_v_add_lshl_u32 v94, v67, v64, 0x2                 // scaleToBpe: accumulate d0 lower and *= bpe into Cin addr
v_cndmask_b32 v94, -1, v94, s[58:59]               // LDD clip if OOB. offset
/* (d1,vc1,d0,vc0)=(1,0,0,1) */
_v_add_co_u32 v68, vcc, v64, 1                     // coord0.1: coord0 += d0*sg0*VW + vc0
v_cmp_lt_u32 s[54:55], v68, s[sgprSizeI]           // coord0 < size0
v_cmp_lt_u32 s[58:59], v65, s[sgprSizeJ]           // coord1 < size1
s_and_b64 s[58:59], s[54:55], s[58:59]             // in0 && in1
_v_add_lshl_u32 v97, v67, v68, 0x2                 // scaleToBpe: accumulate d0 lower and *= bpe into Cin addr
v_cndmask_b32 v97, -1, v97, s[58:59]               // LDD clip if OOB. offset
/* (d1,vc1,d0,vc0)=(1,0,0,2) */
_v_add_co_u32 v68, vcc, v64, 2                     // coord0.1: coord0 += d0*sg0*VW + vc0
v_cmp_lt_u32 s[54:55], v68, s[sgprSizeI]           // coord0 < size0
v_cmp_lt_u32 s[58:59], v65, s[sgprSizeJ]           // coord1 < size1
s_and_b64 s[58:59], s[54:55], s[58:59]             // in0 && in1
_v_add_lshl_u32 v100, v67, v68, 0x2                // scaleToBpe: accumulate d0 lower and *= bpe into Cin addr
v_cndmask_b32 v100, -1, v100, s[58:59]             // LDD clip if OOB. offset
/* (d1,vc1,d0,vc0)=(1,0,0,3) */
_v_add_co_u32 v68, vcc, v64, 3                     // coord0.1: coord0 += d0*sg0*VW + vc0
v_cmp_lt_u32 s[54:55], v68, s[sgprSizeI]           // coord0 < size0
v_cmp_lt_u32 s[58:59], v65, s[sgprSizeJ]           // coord1 < size1
s_and_b64 s[58:59], s[54:55], s[58:59]             // in0 && in1
_v_add_lshl_u32 v103, v67, v68, 0x2                // scaleToBpe: accumulate d0 lower and *= bpe into Cin addr
v_cndmask_b32 v103, -1, v103, s[58:59]             // LDD clip if OOB. offset
/* (d1,vc1,d0,vc0)=(1,0,1,0) */
_v_add_co_u32 v68, vcc, v64, 64                    // coord0.1: coord0 += d0*sg0*VW + vc0
v_cmp_lt_u32 s[54:55], v68, s[sgprSizeI]           // coord0 < size0
v_cmp_lt_u32 s[58:59], v65, s[sgprSizeJ]           // coord1 < size1
s_and_b64 s[58:59], s[54:55], s[58:59]             // in0 && in1
_v_add_lshl_u32 v106, v67, v68, 0x2                // scaleToBpe: accumulate d0 lower and *= bpe into Cin addr
v_cndmask_b32 v106, -1, v106, s[58:59]             // LDD clip if OOB. offset
/* (d1,vc1,d0,vc0)=(1,0,1,1) */
s_mov_b32 s54, 65                                  // coordOffset0 d0=1 vc0=1
_v_add_co_u32 v68, vcc, v64, s54                   // coord0.2: coord0 += d0*sg0*VW + vc0
v_cmp_lt_u32 s[54:55], v68, s[sgprSizeI]           // coord0 < size0
v_cmp_lt_u32 s[58:59], v65, s[sgprSizeJ]           // coord1 < size1
s_and_b64 s[58:59], s[54:55], s[58:59]             // in0 && in1
_v_add_lshl_u32 v109, v67, v68, 0x2                // scaleToBpe: accumulate d0 lower and *= bpe into Cin addr
v_cndmask_b32 v109, -1, v109, s[58:59]             // LDD clip if OOB. offset
/* (d1,vc1,d0,vc0)=(1,0,1,2) */
s_mov_b32 s54, 66                                  // coordOffset0 d0=1 vc0=2
_v_add_co_u32 v68, vcc, v64, s54                   // coord0.2: coord0 += d0*sg0*VW + vc0
	;; [unrolled: 8-line block ×3, first 2 shown]
v_cmp_lt_u32 s[54:55], v68, s[sgprSizeI]           // coord0 < size0
v_cmp_lt_u32 s[58:59], v65, s[sgprSizeJ]           // coord1 < size1
s_and_b64 s[58:59], s[54:55], s[58:59]             // in0 && in1
_v_add_lshl_u32 v115, v67, v68, 0x2                // scaleToBpe: accumulate d0 lower and *= bpe into Cin addr
v_cndmask_b32 v115, -1, v115, s[58:59]             // LDD clip if OOB. offset

/* rC *= alpha batchElements=[(0, 0, 0, 0), (0, 0, 0, 1), (0, 0, 0, 2), (0, 0, 0, 3), (0, 1, 0, 0), (0, 1, 0, 1), (0, 1, 0, 2), (0, 1, 0, 3), (1, 0, 0, 0), (1, 0, 0, 1), (1, 0, 0, 2), (1, 0, 0, 3), (1, 1, 0, 0), (1, 1, 0, 1), (1, 1, 0, 2), (1, 1, 0, 3)] */
v_mul_f32 v[vgprValuC+72], s[sgprAlpha], v[vgprValuC+0] // Multiply MI out reg with alpha
v_mul_f32 v[vgprValuC+75], s[sgprAlpha], v[vgprValuC+1] // Multiply MI out reg with alpha
	;; [unrolled: 1-line block ×16, first 2 shown]

/* apply mask, calc new C and issue writes */
_buffer_store_b32 v72, v70, s[sgprSrdD:sgprSrdD+3], 0, offen, offset:0,  sc0 sc1 // store D
_buffer_store_b32 v75, v73, s[sgprSrdD:sgprSrdD+3], 0, offen, offset:0,  sc0 sc1 // store D
	;; [unrolled: 1-line block ×16, first 2 shown]
s_nop 0                                            // 1 wait state required when next inst writes vgprs held by previous dwordx4 store inst
/* optSingleColVgpr=0 optSharedColVgpr=0 optSGPRUsage=BufferLoad_Edge_Mask optSrdIncForRow=0 */
s_sleep 3 // optimization: sync and wait
s_barrier

/******************************************/
/* Global Write Alpha Edge Batch #1 (d1,d0,vc1,vc0) = */
/*    (2,0,0,0:vw1); (2,0,0,1:vw1); (2,0,0,2:vw1); (2,0,0,3:vw1); (2,1,0,0:vw1); (2,1,0,1:vw1); (2,1,0,2:vw1); (2,1,0,3:vw1); (3,0,0,0:vw1); (3,0,0,1:vw1); (3,0,0,2:vw1); (3,0,0,3:vw1); (3,1,0,0:vw1); (3,1,0,1:vw1); (3,1,0,2:vw1); (3,1,0,3:vw1) */
/******************************************/

/* calc coords, apply mask, and issue loads (if necessary) */
/* (d1,vc1,d0,vc0)=(2,0,0,0) */
_v_add_co_u32 v65, vcc, v65, 16                    // coord1.1: coord1Vgpr += d1*sg1*VW + vc1

/* Fix for UseInitialStridesCD, emitAddressSetupCode */
s_mul_i32 s54, s[sgprStrideC1J], 16                // scale stride
_v_add_u32 v66, v66, s54                           // ROWINC- Move cinRowPtr to next row
s_mul_i32 s54, s[sgprStrideD1J], 16                // scale stride
_v_add_u32 v67, v67, s54                           // Move coutRowPtr to next row
v_cmp_lt_u32 s[54:55], v64, s[sgprSizeI]           // coord0 < size0
v_cmp_lt_u32 s[58:59], v65, s[sgprSizeJ]           // coord1 < size1
s_and_b64 s[58:59], s[54:55], s[58:59]             // in0 && in1
_v_add_lshl_u32 v70, v67, v64, 0x2                 // scaleToBpe: accumulate d0 lower and *= bpe into Cin addr
v_cndmask_b32 v70, -1, v70, s[58:59]               // LDD clip if OOB. offset
/* (d1,vc1,d0,vc0)=(2,0,0,1) */
_v_add_co_u32 v68, vcc, v64, 1                     // coord0.1: coord0 += d0*sg0*VW + vc0
v_cmp_lt_u32 s[54:55], v68, s[sgprSizeI]           // coord0 < size0
v_cmp_lt_u32 s[58:59], v65, s[sgprSizeJ]           // coord1 < size1
s_and_b64 s[58:59], s[54:55], s[58:59]             // in0 && in1
_v_add_lshl_u32 v73, v67, v68, 0x2                 // scaleToBpe: accumulate d0 lower and *= bpe into Cin addr
v_cndmask_b32 v73, -1, v73, s[58:59]               // LDD clip if OOB. offset
/* (d1,vc1,d0,vc0)=(2,0,0,2) */
_v_add_co_u32 v68, vcc, v64, 2                     // coord0.1: coord0 += d0*sg0*VW + vc0
	;; [unrolled: 7-line block ×3, first 2 shown]
v_cmp_lt_u32 s[54:55], v68, s[sgprSizeI]           // coord0 < size0
v_cmp_lt_u32 s[58:59], v65, s[sgprSizeJ]           // coord1 < size1
s_and_b64 s[58:59], s[54:55], s[58:59]             // in0 && in1
_v_add_lshl_u32 v79, v67, v68, 0x2                 // scaleToBpe: accumulate d0 lower and *= bpe into Cin addr
v_cndmask_b32 v79, -1, v79, s[58:59]               // LDD clip if OOB. offset
/* (d1,vc1,d0,vc0)=(2,0,1,0) */
_v_add_co_u32 v68, vcc, v64, 64                    // coord0.1: coord0 += d0*sg0*VW + vc0
v_cmp_lt_u32 s[54:55], v68, s[sgprSizeI]           // coord0 < size0
v_cmp_lt_u32 s[58:59], v65, s[sgprSizeJ]           // coord1 < size1
s_and_b64 s[58:59], s[54:55], s[58:59]             // in0 && in1
_v_add_lshl_u32 v82, v67, v68, 0x2                 // scaleToBpe: accumulate d0 lower and *= bpe into Cin addr
v_cndmask_b32 v82, -1, v82, s[58:59]               // LDD clip if OOB. offset
/* (d1,vc1,d0,vc0)=(2,0,1,1) */
s_mov_b32 s54, 65                                  // coordOffset0 d0=1 vc0=1
_v_add_co_u32 v68, vcc, v64, s54                   // coord0.2: coord0 += d0*sg0*VW + vc0
v_cmp_lt_u32 s[54:55], v68, s[sgprSizeI]           // coord0 < size0
v_cmp_lt_u32 s[58:59], v65, s[sgprSizeJ]           // coord1 < size1
s_and_b64 s[58:59], s[54:55], s[58:59]             // in0 && in1
_v_add_lshl_u32 v85, v67, v68, 0x2                 // scaleToBpe: accumulate d0 lower and *= bpe into Cin addr
v_cndmask_b32 v85, -1, v85, s[58:59]               // LDD clip if OOB. offset
/* (d1,vc1,d0,vc0)=(2,0,1,2) */
s_mov_b32 s54, 66                                  // coordOffset0 d0=1 vc0=2
_v_add_co_u32 v68, vcc, v64, s54                   // coord0.2: coord0 += d0*sg0*VW + vc0
	;; [unrolled: 8-line block ×3, first 2 shown]
v_cmp_lt_u32 s[54:55], v68, s[sgprSizeI]           // coord0 < size0
v_cmp_lt_u32 s[58:59], v65, s[sgprSizeJ]           // coord1 < size1
s_and_b64 s[58:59], s[54:55], s[58:59]             // in0 && in1
_v_add_lshl_u32 v91, v67, v68, 0x2                 // scaleToBpe: accumulate d0 lower and *= bpe into Cin addr
v_cndmask_b32 v91, -1, v91, s[58:59]               // LDD clip if OOB. offset
/* (d1,vc1,d0,vc0)=(3,0,0,0) */
_v_add_co_u32 v65, vcc, v65, 16                    // coord1.1: coord1Vgpr += d1*sg1*VW + vc1

/* Fix for UseInitialStridesCD, emitAddressSetupCode */
s_mul_i32 s54, s[sgprStrideC1J], 16                // scale stride
_v_add_u32 v66, v66, s54                           // ROWINC- Move cinRowPtr to next row
s_mul_i32 s54, s[sgprStrideD1J], 16                // scale stride
_v_add_u32 v67, v67, s54                           // Move coutRowPtr to next row
v_cmp_lt_u32 s[54:55], v64, s[sgprSizeI]           // coord0 < size0
v_cmp_lt_u32 s[58:59], v65, s[sgprSizeJ]           // coord1 < size1
s_and_b64 s[58:59], s[54:55], s[58:59]             // in0 && in1
_v_add_lshl_u32 v94, v67, v64, 0x2                 // scaleToBpe: accumulate d0 lower and *= bpe into Cin addr
v_cndmask_b32 v94, -1, v94, s[58:59]               // LDD clip if OOB. offset
/* (d1,vc1,d0,vc0)=(3,0,0,1) */
_v_add_co_u32 v68, vcc, v64, 1                     // coord0.1: coord0 += d0*sg0*VW + vc0
v_cmp_lt_u32 s[54:55], v68, s[sgprSizeI]           // coord0 < size0
v_cmp_lt_u32 s[58:59], v65, s[sgprSizeJ]           // coord1 < size1
s_and_b64 s[58:59], s[54:55], s[58:59]             // in0 && in1
_v_add_lshl_u32 v97, v67, v68, 0x2                 // scaleToBpe: accumulate d0 lower and *= bpe into Cin addr
v_cndmask_b32 v97, -1, v97, s[58:59]               // LDD clip if OOB. offset
/* (d1,vc1,d0,vc0)=(3,0,0,2) */
_v_add_co_u32 v68, vcc, v64, 2                     // coord0.1: coord0 += d0*sg0*VW + vc0
v_cmp_lt_u32 s[54:55], v68, s[sgprSizeI]           // coord0 < size0
v_cmp_lt_u32 s[58:59], v65, s[sgprSizeJ]           // coord1 < size1
s_and_b64 s[58:59], s[54:55], s[58:59]             // in0 && in1
_v_add_lshl_u32 v100, v67, v68, 0x2                // scaleToBpe: accumulate d0 lower and *= bpe into Cin addr
v_cndmask_b32 v100, -1, v100, s[58:59]             // LDD clip if OOB. offset
/* (d1,vc1,d0,vc0)=(3,0,0,3) */
_v_add_co_u32 v68, vcc, v64, 3                     // coord0.1: coord0 += d0*sg0*VW + vc0
v_cmp_lt_u32 s[54:55], v68, s[sgprSizeI]           // coord0 < size0
v_cmp_lt_u32 s[58:59], v65, s[sgprSizeJ]           // coord1 < size1
s_and_b64 s[58:59], s[54:55], s[58:59]             // in0 && in1
_v_add_lshl_u32 v103, v67, v68, 0x2                // scaleToBpe: accumulate d0 lower and *= bpe into Cin addr
v_cndmask_b32 v103, -1, v103, s[58:59]             // LDD clip if OOB. offset
/* (d1,vc1,d0,vc0)=(3,0,1,0) */
_v_add_co_u32 v68, vcc, v64, 64                    // coord0.1: coord0 += d0*sg0*VW + vc0
v_cmp_lt_u32 s[54:55], v68, s[sgprSizeI]           // coord0 < size0
v_cmp_lt_u32 s[58:59], v65, s[sgprSizeJ]           // coord1 < size1
s_and_b64 s[58:59], s[54:55], s[58:59]             // in0 && in1
_v_add_lshl_u32 v106, v67, v68, 0x2                // scaleToBpe: accumulate d0 lower and *= bpe into Cin addr
v_cndmask_b32 v106, -1, v106, s[58:59]             // LDD clip if OOB. offset
/* (d1,vc1,d0,vc0)=(3,0,1,1) */
s_mov_b32 s54, 65                                  // coordOffset0 d0=1 vc0=1
_v_add_co_u32 v68, vcc, v64, s54                   // coord0.2: coord0 += d0*sg0*VW + vc0
v_cmp_lt_u32 s[54:55], v68, s[sgprSizeI]           // coord0 < size0
v_cmp_lt_u32 s[58:59], v65, s[sgprSizeJ]           // coord1 < size1
s_and_b64 s[58:59], s[54:55], s[58:59]             // in0 && in1
_v_add_lshl_u32 v109, v67, v68, 0x2                // scaleToBpe: accumulate d0 lower and *= bpe into Cin addr
v_cndmask_b32 v109, -1, v109, s[58:59]             // LDD clip if OOB. offset
/* (d1,vc1,d0,vc0)=(3,0,1,2) */
s_mov_b32 s54, 66                                  // coordOffset0 d0=1 vc0=2
_v_add_co_u32 v68, vcc, v64, s54                   // coord0.2: coord0 += d0*sg0*VW + vc0
	;; [unrolled: 8-line block ×3, first 2 shown]
v_cmp_lt_u32 s[54:55], v68, s[sgprSizeI]           // coord0 < size0
v_cmp_lt_u32 s[58:59], v65, s[sgprSizeJ]           // coord1 < size1
s_and_b64 s[58:59], s[54:55], s[58:59]             // in0 && in1
_v_add_lshl_u32 v115, v67, v68, 0x2                // scaleToBpe: accumulate d0 lower and *= bpe into Cin addr
v_cndmask_b32 v115, -1, v115, s[58:59]             // LDD clip if OOB. offset

/* rC *= alpha batchElements=[(2, 0, 0, 0), (2, 0, 0, 1), (2, 0, 0, 2), (2, 0, 0, 3), (2, 1, 0, 0), (2, 1, 0, 1), (2, 1, 0, 2), (2, 1, 0, 3), (3, 0, 0, 0), (3, 0, 0, 1), (3, 0, 0, 2), (3, 0, 0, 3), (3, 1, 0, 0), (3, 1, 0, 1), (3, 1, 0, 2), (3, 1, 0, 3)] */
v_mul_f32 v[vgprValuC+72], s[sgprAlpha], v[vgprValuC+16] // Multiply MI out reg with alpha
v_mul_f32 v[vgprValuC+75], s[sgprAlpha], v[vgprValuC+17] // Multiply MI out reg with alpha
	;; [unrolled: 1-line block ×16, first 2 shown]

/* apply mask, calc new C and issue writes */
_buffer_store_b32 v72, v70, s[sgprSrdD:sgprSrdD+3], 0, offen, offset:0,  sc0 sc1 // store D
_buffer_store_b32 v75, v73, s[sgprSrdD:sgprSrdD+3], 0, offen, offset:0,  sc0 sc1 // store D
	;; [unrolled: 1-line block ×16, first 2 shown]
s_nop 0                                            // 1 wait state required when next inst writes vgprs held by previous dwordx4 store inst
/* optSingleColVgpr=0 optSharedColVgpr=0 optSGPRUsage=BufferLoad_Edge_Mask optSrdIncForRow=0 */
s_sleep 3 // optimization: sync and wait
s_barrier

/******************************************/
/* Global Write Alpha Edge Batch #2 (d1,d0,vc1,vc0) = */
/*    (4,0,0,0:vw1); (4,0,0,1:vw1); (4,0,0,2:vw1); (4,0,0,3:vw1); (4,1,0,0:vw1); (4,1,0,1:vw1); (4,1,0,2:vw1); (4,1,0,3:vw1); (5,0,0,0:vw1); (5,0,0,1:vw1); (5,0,0,2:vw1); (5,0,0,3:vw1); (5,1,0,0:vw1); (5,1,0,1:vw1); (5,1,0,2:vw1); (5,1,0,3:vw1) */
/******************************************/

/* calc coords, apply mask, and issue loads (if necessary) */
/* (d1,vc1,d0,vc0)=(4,0,0,0) */
_v_add_co_u32 v65, vcc, v65, 16                    // coord1.1: coord1Vgpr += d1*sg1*VW + vc1

/* Fix for UseInitialStridesCD, emitAddressSetupCode */
s_mul_i32 s54, s[sgprStrideC1J], 16                // scale stride
_v_add_u32 v66, v66, s54                           // ROWINC- Move cinRowPtr to next row
s_mul_i32 s54, s[sgprStrideD1J], 16                // scale stride
_v_add_u32 v67, v67, s54                           // Move coutRowPtr to next row
v_cmp_lt_u32 s[54:55], v64, s[sgprSizeI]           // coord0 < size0
v_cmp_lt_u32 s[58:59], v65, s[sgprSizeJ]           // coord1 < size1
s_and_b64 s[58:59], s[54:55], s[58:59]             // in0 && in1
_v_add_lshl_u32 v70, v67, v64, 0x2                 // scaleToBpe: accumulate d0 lower and *= bpe into Cin addr
v_cndmask_b32 v70, -1, v70, s[58:59]               // LDD clip if OOB. offset
/* (d1,vc1,d0,vc0)=(4,0,0,1) */
_v_add_co_u32 v68, vcc, v64, 1                     // coord0.1: coord0 += d0*sg0*VW + vc0
v_cmp_lt_u32 s[54:55], v68, s[sgprSizeI]           // coord0 < size0
v_cmp_lt_u32 s[58:59], v65, s[sgprSizeJ]           // coord1 < size1
s_and_b64 s[58:59], s[54:55], s[58:59]             // in0 && in1
_v_add_lshl_u32 v73, v67, v68, 0x2                 // scaleToBpe: accumulate d0 lower and *= bpe into Cin addr
v_cndmask_b32 v73, -1, v73, s[58:59]               // LDD clip if OOB. offset
/* (d1,vc1,d0,vc0)=(4,0,0,2) */
_v_add_co_u32 v68, vcc, v64, 2                     // coord0.1: coord0 += d0*sg0*VW + vc0
	;; [unrolled: 7-line block ×3, first 2 shown]
v_cmp_lt_u32 s[54:55], v68, s[sgprSizeI]           // coord0 < size0
v_cmp_lt_u32 s[58:59], v65, s[sgprSizeJ]           // coord1 < size1
s_and_b64 s[58:59], s[54:55], s[58:59]             // in0 && in1
_v_add_lshl_u32 v79, v67, v68, 0x2                 // scaleToBpe: accumulate d0 lower and *= bpe into Cin addr
v_cndmask_b32 v79, -1, v79, s[58:59]               // LDD clip if OOB. offset
/* (d1,vc1,d0,vc0)=(4,0,1,0) */
_v_add_co_u32 v68, vcc, v64, 64                    // coord0.1: coord0 += d0*sg0*VW + vc0
v_cmp_lt_u32 s[54:55], v68, s[sgprSizeI]           // coord0 < size0
v_cmp_lt_u32 s[58:59], v65, s[sgprSizeJ]           // coord1 < size1
s_and_b64 s[58:59], s[54:55], s[58:59]             // in0 && in1
_v_add_lshl_u32 v82, v67, v68, 0x2                 // scaleToBpe: accumulate d0 lower and *= bpe into Cin addr
v_cndmask_b32 v82, -1, v82, s[58:59]               // LDD clip if OOB. offset
/* (d1,vc1,d0,vc0)=(4,0,1,1) */
s_mov_b32 s54, 65                                  // coordOffset0 d0=1 vc0=1
_v_add_co_u32 v68, vcc, v64, s54                   // coord0.2: coord0 += d0*sg0*VW + vc0
v_cmp_lt_u32 s[54:55], v68, s[sgprSizeI]           // coord0 < size0
v_cmp_lt_u32 s[58:59], v65, s[sgprSizeJ]           // coord1 < size1
s_and_b64 s[58:59], s[54:55], s[58:59]             // in0 && in1
_v_add_lshl_u32 v85, v67, v68, 0x2                 // scaleToBpe: accumulate d0 lower and *= bpe into Cin addr
v_cndmask_b32 v85, -1, v85, s[58:59]               // LDD clip if OOB. offset
/* (d1,vc1,d0,vc0)=(4,0,1,2) */
s_mov_b32 s54, 66                                  // coordOffset0 d0=1 vc0=2
_v_add_co_u32 v68, vcc, v64, s54                   // coord0.2: coord0 += d0*sg0*VW + vc0
v_cmp_lt_u32 s[54:55], v68, s[sgprSizeI]           // coord0 < size0
v_cmp_lt_u32 s[58:59], v65, s[sgprSizeJ]           // coord1 < size1
s_and_b64 s[58:59], s[54:55], s[58:59]             // in0 && in1
_v_add_lshl_u32 v88, v67, v68, 0x2                 // scaleToBpe: accumulate d0 lower and *= bpe into Cin addr
v_cndmask_b32 v88, -1, v88, s[58:59]               // LDD clip if OOB. offset
/* (d1,vc1,d0,vc0)=(4,0,1,3) */
s_mov_b32 s54, 67                                  // coordOffset0 d0=1 vc0=3
_v_add_co_u32 v68, vcc, v64, s54                   // coord0.2: coord0 += d0*sg0*VW + vc0
v_cmp_lt_u32 s[54:55], v68, s[sgprSizeI]           // coord0 < size0
v_cmp_lt_u32 s[58:59], v65, s[sgprSizeJ]           // coord1 < size1
s_and_b64 s[58:59], s[54:55], s[58:59]             // in0 && in1
_v_add_lshl_u32 v91, v67, v68, 0x2                 // scaleToBpe: accumulate d0 lower and *= bpe into Cin addr
v_cndmask_b32 v91, -1, v91, s[58:59]               // LDD clip if OOB. offset
/* (d1,vc1,d0,vc0)=(5,0,0,0) */
_v_add_co_u32 v65, vcc, v65, 16                    // coord1.1: coord1Vgpr += d1*sg1*VW + vc1

/* Fix for UseInitialStridesCD, emitAddressSetupCode */
s_mul_i32 s54, s[sgprStrideC1J], 16                // scale stride
_v_add_u32 v66, v66, s54                           // ROWINC- Move cinRowPtr to next row
s_mul_i32 s54, s[sgprStrideD1J], 16                // scale stride
_v_add_u32 v67, v67, s54                           // Move coutRowPtr to next row
v_cmp_lt_u32 s[54:55], v64, s[sgprSizeI]           // coord0 < size0
v_cmp_lt_u32 s[58:59], v65, s[sgprSizeJ]           // coord1 < size1
s_and_b64 s[58:59], s[54:55], s[58:59]             // in0 && in1
_v_add_lshl_u32 v94, v67, v64, 0x2                 // scaleToBpe: accumulate d0 lower and *= bpe into Cin addr
v_cndmask_b32 v94, -1, v94, s[58:59]               // LDD clip if OOB. offset
/* (d1,vc1,d0,vc0)=(5,0,0,1) */
_v_add_co_u32 v68, vcc, v64, 1                     // coord0.1: coord0 += d0*sg0*VW + vc0
v_cmp_lt_u32 s[54:55], v68, s[sgprSizeI]           // coord0 < size0
v_cmp_lt_u32 s[58:59], v65, s[sgprSizeJ]           // coord1 < size1
s_and_b64 s[58:59], s[54:55], s[58:59]             // in0 && in1
_v_add_lshl_u32 v97, v67, v68, 0x2                 // scaleToBpe: accumulate d0 lower and *= bpe into Cin addr
v_cndmask_b32 v97, -1, v97, s[58:59]               // LDD clip if OOB. offset
/* (d1,vc1,d0,vc0)=(5,0,0,2) */
_v_add_co_u32 v68, vcc, v64, 2                     // coord0.1: coord0 += d0*sg0*VW + vc0
v_cmp_lt_u32 s[54:55], v68, s[sgprSizeI]           // coord0 < size0
v_cmp_lt_u32 s[58:59], v65, s[sgprSizeJ]           // coord1 < size1
s_and_b64 s[58:59], s[54:55], s[58:59]             // in0 && in1
_v_add_lshl_u32 v100, v67, v68, 0x2                // scaleToBpe: accumulate d0 lower and *= bpe into Cin addr
v_cndmask_b32 v100, -1, v100, s[58:59]             // LDD clip if OOB. offset
/* (d1,vc1,d0,vc0)=(5,0,0,3) */
_v_add_co_u32 v68, vcc, v64, 3                     // coord0.1: coord0 += d0*sg0*VW + vc0
v_cmp_lt_u32 s[54:55], v68, s[sgprSizeI]           // coord0 < size0
v_cmp_lt_u32 s[58:59], v65, s[sgprSizeJ]           // coord1 < size1
s_and_b64 s[58:59], s[54:55], s[58:59]             // in0 && in1
_v_add_lshl_u32 v103, v67, v68, 0x2                // scaleToBpe: accumulate d0 lower and *= bpe into Cin addr
v_cndmask_b32 v103, -1, v103, s[58:59]             // LDD clip if OOB. offset
/* (d1,vc1,d0,vc0)=(5,0,1,0) */
_v_add_co_u32 v68, vcc, v64, 64                    // coord0.1: coord0 += d0*sg0*VW + vc0
v_cmp_lt_u32 s[54:55], v68, s[sgprSizeI]           // coord0 < size0
v_cmp_lt_u32 s[58:59], v65, s[sgprSizeJ]           // coord1 < size1
s_and_b64 s[58:59], s[54:55], s[58:59]             // in0 && in1
_v_add_lshl_u32 v106, v67, v68, 0x2                // scaleToBpe: accumulate d0 lower and *= bpe into Cin addr
v_cndmask_b32 v106, -1, v106, s[58:59]             // LDD clip if OOB. offset
/* (d1,vc1,d0,vc0)=(5,0,1,1) */
s_mov_b32 s54, 65                                  // coordOffset0 d0=1 vc0=1
_v_add_co_u32 v68, vcc, v64, s54                   // coord0.2: coord0 += d0*sg0*VW + vc0
v_cmp_lt_u32 s[54:55], v68, s[sgprSizeI]           // coord0 < size0
v_cmp_lt_u32 s[58:59], v65, s[sgprSizeJ]           // coord1 < size1
s_and_b64 s[58:59], s[54:55], s[58:59]             // in0 && in1
_v_add_lshl_u32 v109, v67, v68, 0x2                // scaleToBpe: accumulate d0 lower and *= bpe into Cin addr
v_cndmask_b32 v109, -1, v109, s[58:59]             // LDD clip if OOB. offset
/* (d1,vc1,d0,vc0)=(5,0,1,2) */
s_mov_b32 s54, 66                                  // coordOffset0 d0=1 vc0=2
_v_add_co_u32 v68, vcc, v64, s54                   // coord0.2: coord0 += d0*sg0*VW + vc0
	;; [unrolled: 8-line block ×3, first 2 shown]
v_cmp_lt_u32 s[54:55], v68, s[sgprSizeI]           // coord0 < size0
v_cmp_lt_u32 s[58:59], v65, s[sgprSizeJ]           // coord1 < size1
s_and_b64 s[58:59], s[54:55], s[58:59]             // in0 && in1
_v_add_lshl_u32 v115, v67, v68, 0x2                // scaleToBpe: accumulate d0 lower and *= bpe into Cin addr
v_cndmask_b32 v115, -1, v115, s[58:59]             // LDD clip if OOB. offset

/* rC *= alpha batchElements=[(4, 0, 0, 0), (4, 0, 0, 1), (4, 0, 0, 2), (4, 0, 0, 3), (4, 1, 0, 0), (4, 1, 0, 1), (4, 1, 0, 2), (4, 1, 0, 3), (5, 0, 0, 0), (5, 0, 0, 1), (5, 0, 0, 2), (5, 0, 0, 3), (5, 1, 0, 0), (5, 1, 0, 1), (5, 1, 0, 2), (5, 1, 0, 3)] */
v_mul_f32 v[vgprValuC+72], s[sgprAlpha], v[vgprValuC+32] // Multiply MI out reg with alpha
v_mul_f32 v[vgprValuC+75], s[sgprAlpha], v[vgprValuC+33] // Multiply MI out reg with alpha
	;; [unrolled: 1-line block ×16, first 2 shown]

/* apply mask, calc new C and issue writes */
_buffer_store_b32 v72, v70, s[sgprSrdD:sgprSrdD+3], 0, offen, offset:0,  sc0 sc1 // store D
_buffer_store_b32 v75, v73, s[sgprSrdD:sgprSrdD+3], 0, offen, offset:0,  sc0 sc1 // store D
	;; [unrolled: 1-line block ×16, first 2 shown]
s_nop 0                                            // 1 wait state required when next inst writes vgprs held by previous dwordx4 store inst
/* optSingleColVgpr=0 optSharedColVgpr=0 optSGPRUsage=BufferLoad_Edge_Mask optSrdIncForRow=0 */
s_sleep 3 // optimization: sync and wait
s_barrier

/******************************************/
/* Global Write Alpha Edge Batch #3 (d1,d0,vc1,vc0) = */
/*    (6,0,0,0:vw1); (6,0,0,1:vw1); (6,0,0,2:vw1); (6,0,0,3:vw1); (6,1,0,0:vw1); (6,1,0,1:vw1); (6,1,0,2:vw1); (6,1,0,3:vw1); (7,0,0,0:vw1); (7,0,0,1:vw1); (7,0,0,2:vw1); (7,0,0,3:vw1); (7,1,0,0:vw1); (7,1,0,1:vw1); (7,1,0,2:vw1); (7,1,0,3:vw1) */
/******************************************/

/* calc coords, apply mask, and issue loads (if necessary) */
/* (d1,vc1,d0,vc0)=(6,0,0,0) */
_v_add_co_u32 v65, vcc, v65, 16                    // coord1.1: coord1Vgpr += d1*sg1*VW + vc1

/* Fix for UseInitialStridesCD, emitAddressSetupCode */
s_mul_i32 s54, s[sgprStrideC1J], 16                // scale stride
_v_add_u32 v66, v66, s54                           // ROWINC- Move cinRowPtr to next row
s_mul_i32 s54, s[sgprStrideD1J], 16                // scale stride
_v_add_u32 v67, v67, s54                           // Move coutRowPtr to next row
v_cmp_lt_u32 s[54:55], v64, s[sgprSizeI]           // coord0 < size0
v_cmp_lt_u32 s[58:59], v65, s[sgprSizeJ]           // coord1 < size1
s_and_b64 s[58:59], s[54:55], s[58:59]             // in0 && in1
_v_add_lshl_u32 v70, v67, v64, 0x2                 // scaleToBpe: accumulate d0 lower and *= bpe into Cin addr
v_cndmask_b32 v70, -1, v70, s[58:59]               // LDD clip if OOB. offset
/* (d1,vc1,d0,vc0)=(6,0,0,1) */
_v_add_co_u32 v68, vcc, v64, 1                     // coord0.1: coord0 += d0*sg0*VW + vc0
v_cmp_lt_u32 s[54:55], v68, s[sgprSizeI]           // coord0 < size0
v_cmp_lt_u32 s[58:59], v65, s[sgprSizeJ]           // coord1 < size1
s_and_b64 s[58:59], s[54:55], s[58:59]             // in0 && in1
_v_add_lshl_u32 v73, v67, v68, 0x2                 // scaleToBpe: accumulate d0 lower and *= bpe into Cin addr
v_cndmask_b32 v73, -1, v73, s[58:59]               // LDD clip if OOB. offset
/* (d1,vc1,d0,vc0)=(6,0,0,2) */
_v_add_co_u32 v68, vcc, v64, 2                     // coord0.1: coord0 += d0*sg0*VW + vc0
	;; [unrolled: 7-line block ×3, first 2 shown]
v_cmp_lt_u32 s[54:55], v68, s[sgprSizeI]           // coord0 < size0
v_cmp_lt_u32 s[58:59], v65, s[sgprSizeJ]           // coord1 < size1
s_and_b64 s[58:59], s[54:55], s[58:59]             // in0 && in1
_v_add_lshl_u32 v79, v67, v68, 0x2                 // scaleToBpe: accumulate d0 lower and *= bpe into Cin addr
v_cndmask_b32 v79, -1, v79, s[58:59]               // LDD clip if OOB. offset
/* (d1,vc1,d0,vc0)=(6,0,1,0) */
_v_add_co_u32 v68, vcc, v64, 64                    // coord0.1: coord0 += d0*sg0*VW + vc0
v_cmp_lt_u32 s[54:55], v68, s[sgprSizeI]           // coord0 < size0
v_cmp_lt_u32 s[58:59], v65, s[sgprSizeJ]           // coord1 < size1
s_and_b64 s[58:59], s[54:55], s[58:59]             // in0 && in1
_v_add_lshl_u32 v82, v67, v68, 0x2                 // scaleToBpe: accumulate d0 lower and *= bpe into Cin addr
v_cndmask_b32 v82, -1, v82, s[58:59]               // LDD clip if OOB. offset
/* (d1,vc1,d0,vc0)=(6,0,1,1) */
s_mov_b32 s54, 65                                  // coordOffset0 d0=1 vc0=1
_v_add_co_u32 v68, vcc, v64, s54                   // coord0.2: coord0 += d0*sg0*VW + vc0
v_cmp_lt_u32 s[54:55], v68, s[sgprSizeI]           // coord0 < size0
v_cmp_lt_u32 s[58:59], v65, s[sgprSizeJ]           // coord1 < size1
s_and_b64 s[58:59], s[54:55], s[58:59]             // in0 && in1
_v_add_lshl_u32 v85, v67, v68, 0x2                 // scaleToBpe: accumulate d0 lower and *= bpe into Cin addr
v_cndmask_b32 v85, -1, v85, s[58:59]               // LDD clip if OOB. offset
/* (d1,vc1,d0,vc0)=(6,0,1,2) */
s_mov_b32 s54, 66                                  // coordOffset0 d0=1 vc0=2
_v_add_co_u32 v68, vcc, v64, s54                   // coord0.2: coord0 += d0*sg0*VW + vc0
	;; [unrolled: 8-line block ×3, first 2 shown]
v_cmp_lt_u32 s[54:55], v68, s[sgprSizeI]           // coord0 < size0
v_cmp_lt_u32 s[58:59], v65, s[sgprSizeJ]           // coord1 < size1
s_and_b64 s[58:59], s[54:55], s[58:59]             // in0 && in1
_v_add_lshl_u32 v91, v67, v68, 0x2                 // scaleToBpe: accumulate d0 lower and *= bpe into Cin addr
v_cndmask_b32 v91, -1, v91, s[58:59]               // LDD clip if OOB. offset
/* (d1,vc1,d0,vc0)=(7,0,0,0) */
_v_add_co_u32 v65, vcc, v65, 16                    // coord1.1: coord1Vgpr += d1*sg1*VW + vc1

/* Fix for UseInitialStridesCD, emitAddressSetupCode */
s_mul_i32 s54, s[sgprStrideC1J], 16                // scale stride
_v_add_u32 v66, v66, s54                           // ROWINC- Move cinRowPtr to next row
s_mul_i32 s54, s[sgprStrideD1J], 16                // scale stride
_v_add_u32 v67, v67, s54                           // Move coutRowPtr to next row
v_cmp_lt_u32 s[54:55], v64, s[sgprSizeI]           // coord0 < size0
v_cmp_lt_u32 s[58:59], v65, s[sgprSizeJ]           // coord1 < size1
s_and_b64 s[58:59], s[54:55], s[58:59]             // in0 && in1
_v_add_lshl_u32 v94, v67, v64, 0x2                 // scaleToBpe: accumulate d0 lower and *= bpe into Cin addr
v_cndmask_b32 v94, -1, v94, s[58:59]               // LDD clip if OOB. offset
/* (d1,vc1,d0,vc0)=(7,0,0,1) */
_v_add_co_u32 v68, vcc, v64, 1                     // coord0.1: coord0 += d0*sg0*VW + vc0
v_cmp_lt_u32 s[54:55], v68, s[sgprSizeI]           // coord0 < size0
v_cmp_lt_u32 s[58:59], v65, s[sgprSizeJ]           // coord1 < size1
s_and_b64 s[58:59], s[54:55], s[58:59]             // in0 && in1
_v_add_lshl_u32 v97, v67, v68, 0x2                 // scaleToBpe: accumulate d0 lower and *= bpe into Cin addr
v_cndmask_b32 v97, -1, v97, s[58:59]               // LDD clip if OOB. offset
/* (d1,vc1,d0,vc0)=(7,0,0,2) */
_v_add_co_u32 v68, vcc, v64, 2                     // coord0.1: coord0 += d0*sg0*VW + vc0
v_cmp_lt_u32 s[54:55], v68, s[sgprSizeI]           // coord0 < size0
v_cmp_lt_u32 s[58:59], v65, s[sgprSizeJ]           // coord1 < size1
s_and_b64 s[58:59], s[54:55], s[58:59]             // in0 && in1
_v_add_lshl_u32 v100, v67, v68, 0x2                // scaleToBpe: accumulate d0 lower and *= bpe into Cin addr
v_cndmask_b32 v100, -1, v100, s[58:59]             // LDD clip if OOB. offset
/* (d1,vc1,d0,vc0)=(7,0,0,3) */
_v_add_co_u32 v68, vcc, v64, 3                     // coord0.1: coord0 += d0*sg0*VW + vc0
v_cmp_lt_u32 s[54:55], v68, s[sgprSizeI]           // coord0 < size0
v_cmp_lt_u32 s[58:59], v65, s[sgprSizeJ]           // coord1 < size1
s_and_b64 s[58:59], s[54:55], s[58:59]             // in0 && in1
_v_add_lshl_u32 v103, v67, v68, 0x2                // scaleToBpe: accumulate d0 lower and *= bpe into Cin addr
v_cndmask_b32 v103, -1, v103, s[58:59]             // LDD clip if OOB. offset
/* (d1,vc1,d0,vc0)=(7,0,1,0) */
_v_add_co_u32 v68, vcc, v64, 64                    // coord0.1: coord0 += d0*sg0*VW + vc0
v_cmp_lt_u32 s[54:55], v68, s[sgprSizeI]           // coord0 < size0
v_cmp_lt_u32 s[58:59], v65, s[sgprSizeJ]           // coord1 < size1
s_and_b64 s[58:59], s[54:55], s[58:59]             // in0 && in1
_v_add_lshl_u32 v106, v67, v68, 0x2                // scaleToBpe: accumulate d0 lower and *= bpe into Cin addr
v_cndmask_b32 v106, -1, v106, s[58:59]             // LDD clip if OOB. offset
/* (d1,vc1,d0,vc0)=(7,0,1,1) */
s_mov_b32 s54, 65                                  // coordOffset0 d0=1 vc0=1
_v_add_co_u32 v68, vcc, v64, s54                   // coord0.2: coord0 += d0*sg0*VW + vc0
v_cmp_lt_u32 s[54:55], v68, s[sgprSizeI]           // coord0 < size0
v_cmp_lt_u32 s[58:59], v65, s[sgprSizeJ]           // coord1 < size1
s_and_b64 s[58:59], s[54:55], s[58:59]             // in0 && in1
_v_add_lshl_u32 v109, v67, v68, 0x2                // scaleToBpe: accumulate d0 lower and *= bpe into Cin addr
v_cndmask_b32 v109, -1, v109, s[58:59]             // LDD clip if OOB. offset
/* (d1,vc1,d0,vc0)=(7,0,1,2) */
s_mov_b32 s54, 66                                  // coordOffset0 d0=1 vc0=2
_v_add_co_u32 v68, vcc, v64, s54                   // coord0.2: coord0 += d0*sg0*VW + vc0
	;; [unrolled: 8-line block ×3, first 2 shown]
v_cmp_lt_u32 s[54:55], v68, s[sgprSizeI]           // coord0 < size0
v_cmp_lt_u32 s[58:59], v65, s[sgprSizeJ]           // coord1 < size1
s_and_b64 s[58:59], s[54:55], s[58:59]             // in0 && in1
_v_add_lshl_u32 v115, v67, v68, 0x2                // scaleToBpe: accumulate d0 lower and *= bpe into Cin addr
v_cndmask_b32 v115, -1, v115, s[58:59]             // LDD clip if OOB. offset

/* rC *= alpha batchElements=[(6, 0, 0, 0), (6, 0, 0, 1), (6, 0, 0, 2), (6, 0, 0, 3), (6, 1, 0, 0), (6, 1, 0, 1), (6, 1, 0, 2), (6, 1, 0, 3), (7, 0, 0, 0), (7, 0, 0, 1), (7, 0, 0, 2), (7, 0, 0, 3), (7, 1, 0, 0), (7, 1, 0, 1), (7, 1, 0, 2), (7, 1, 0, 3)] */
v_mul_f32 v[vgprValuC+72], s[sgprAlpha], v[vgprValuC+48] // Multiply MI out reg with alpha
v_mul_f32 v[vgprValuC+75], s[sgprAlpha], v[vgprValuC+49] // Multiply MI out reg with alpha
	;; [unrolled: 1-line block ×16, first 2 shown]

/* apply mask, calc new C and issue writes */
_buffer_store_b32 v72, v70, s[sgprSrdD:sgprSrdD+3], 0, offen, offset:0,  sc0 sc1 // store D
_buffer_store_b32 v75, v73, s[sgprSrdD:sgprSrdD+3], 0, offen, offset:0,  sc0 sc1 // store D
	;; [unrolled: 1-line block ×16, first 2 shown]
s_nop 0                                            // 1 wait state required when next inst writes vgprs held by previous dwordx4 store inst
s_branch label_GW_End_118                          // jump to end
GW_Beta_119:
s_and_b32 s54, 127, s[sgprSizeI]                   // s54 = s[sgprSizeI] % 128
s_add_u32 s55, -0x1, s[sgprNumWorkGroups0]         // 
s_cmp_ge_u32 s[sgprWorkGroup0], s55                // wg0 >= nwg0-1 ?
s_cselect_b32 s54, s54, 0                          // set rMT0
s_cmpk_gt_u32 s54, 0x0                             // rMT0 > 0
s_cbranch_scc1 GW_B1_E1_117                        // jump if edges required
s_and_b32 s54, 127, s[sgprSizeJ]                   // s54 = s[sgprSizeJ] % 128
s_add_u32 s55, -0x1, s[sgprNumWorkGroups1]         // 
s_cmp_ge_u32 s[sgprWorkGroup1], s55                // wg1 >= nwg1-1
s_cselect_b32 s54, s54, 0                          // set rMT1
s_cmpk_gt_u32 s54, 0x0                             // rMT1 > 0
s_cbranch_scc1 GW_B1_E1_117                        // jump if edges required
GW_B1_E0_114:

/* edge=0, allocate 2 sgpr. perBatchTmpS=2 perBatchMaskS=0 perElementMaskS=0 elementsPerBatch=16 */
/* optSingleColVgpr=1 optSharedColVgpr=0 optSGPRUsage=BufferLoad_Mask optSrdIncForRow=1 */
s_sleep 3 // optimization: sync and wait
s_barrier

/******************************************/
/* Global Write Alpha Beta Batch #0 (d1,d0,vc1,vc0) = */
/*    (0,0,0,0:vw4); (0,1,0,0:vw4); (1,0,0,0:vw4); (1,1,0,0:vw4); (2,0,0,0:vw4); (2,1,0,0:vw4); (3,0,0,0:vw4); (3,1,0,0:vw4); (4,0,0,0:vw4); (4,1,0,0:vw4); (5,0,0,0:vw4); (5,1,0,0:vw4); (6,0,0,0:vw4); (6,1,0,0:vw4); (7,0,0,0:vw4); (7,1,0,0:vw4) */
/******************************************/

/* calc coords, apply mask, and issue loads (if necessary) */

/* rC *= alpha batchElements=[(0, 0, 0, 0), (0, 1, 0, 0), (1, 0, 0, 0), (1, 1, 0, 0), (2, 0, 0, 0), (2, 1, 0, 0), (3, 0, 0, 0), (3, 1, 0, 0), (4, 0, 0, 0), (4, 1, 0, 0), (5, 0, 0, 0), (5, 1, 0, 0), (6, 0, 0, 0), (6, 1, 0, 0), (7, 0, 0, 0), (7, 1, 0, 0)] */
v_mul_f32 v[vgprValuC+76], s[sgprAlpha], v[vgprValuC+0] // Multiply MI out reg with alpha
v_mul_f32 v[vgprValuC+77], s[sgprAlpha], v[vgprValuC+1] // Multiply MI out reg with alpha
	;; [unrolled: 1-line block ×64, first 2 shown]
/* (d1,vc1,d0,vc0)=(0,0,0,0) */
_v_add_lshl_u32 v71, v66, v64, 0x2                 // optSingleColVgpr scaleToBpe: sharedAddrVgpr <- cinRowPtr + coord0, scaled by BPE. BSHERE:coord0=64, coord0Vgpr=64
/* (d1,vc1,d0,vc0)=(0,0,1,0) */
/* (d1,vc1,d0,vc0)=(1,0,0,0) */
	;; [unrolled: 1-line block ×15, first 2 shown]
_v_add_lshl_u32 v70, v67, v64, 0x2                 // optSingleColVgpr scaleToBpe: sharedAddrVgpr <- cinRowPtr + coord0, scaled by BPE. BSHERE:coord0=64, coord0Vgpr=64
_buffer_load_b128 v[72:75], v71, s[sgprSrdC:sgprSrdC+3], 0, offen offset:0,  sc0 sc1 // load C for beta calc
_buffer_load_b128 v[80:83], v71, s[sgprSrdC:sgprSrdC+3], 0, offen offset:256,  sc0 sc1 // load C for beta calc
s_mul_i32 s54, s[sgprStrideC1J], 64                // scale StrideC *= numRows(16) * bpe
s_add_u32  s[sgprSrdC+0], s[sgprSrdC+0], s54       // incToNextRow: gra SRD += inc(lower)
s_addc_u32  s[sgprSrdC+1], s[sgprSrdC+1], 0        // incToNextRow: gra SRD += inc(upper)
_buffer_load_b128 v[88:91], v71, s[sgprSrdC:sgprSrdC+3], 0, offen offset:0,  sc0 sc1 // load C for beta calc
_buffer_load_b128 v[96:99], v71, s[sgprSrdC:sgprSrdC+3], 0, offen offset:256,  sc0 sc1 // load C for beta calc
s_mul_i32 s54, s[sgprStrideC1J], 64                // scale StrideC *= numRows(16) * bpe
s_add_u32  s[sgprSrdC+0], s[sgprSrdC+0], s54       // incToNextRow: gra SRD += inc(lower)
s_addc_u32  s[sgprSrdC+1], s[sgprSrdC+1], 0        // incToNextRow: gra SRD += inc(upper)
	;; [unrolled: 5-line block ×7, first 2 shown]
_buffer_load_b128 v[184:187], v71, s[sgprSrdC:sgprSrdC+3], 0, offen offset:0,  sc0 sc1 // load C for beta calc
_buffer_load_b128 v[192:195], v71, s[sgprSrdC:sgprSrdC+3], 0, offen offset:256,  sc0 sc1 // load C for beta calc
s_sleep 3 // optimization: sync and wait
s_barrier
s_waitcnt vmcnt(0)                                 // wait C

/* apply mask, calc new C and issue writes */
_v_mac_f32 v[vgprValuC+76], v72, s[sgprBeta]       // finalSum = sum*alpha + C*beta
_v_mac_f32 v[vgprValuC+77], v73, s[sgprBeta]       // finalSum = sum*alpha + C*beta
_v_mac_f32 v[vgprValuC+78], v74, s[sgprBeta]       // finalSum = sum*alpha + C*beta
_v_mac_f32 v[vgprValuC+79], v75, s[sgprBeta]       // finalSum = sum*alpha + C*beta
_v_mac_f32 v[vgprValuC+84], v80, s[sgprBeta]       // finalSum = sum*alpha + C*beta
_v_mac_f32 v[vgprValuC+85], v81, s[sgprBeta]       // finalSum = sum*alpha + C*beta
_v_mac_f32 v[vgprValuC+86], v82, s[sgprBeta]       // finalSum = sum*alpha + C*beta
_v_mac_f32 v[vgprValuC+87], v83, s[sgprBeta]       // finalSum = sum*alpha + C*beta
_v_mac_f32 v[vgprValuC+92], v88, s[sgprBeta]       // finalSum = sum*alpha + C*beta
_v_mac_f32 v[vgprValuC+93], v89, s[sgprBeta]       // finalSum = sum*alpha + C*beta
_v_mac_f32 v[vgprValuC+94], v90, s[sgprBeta]       // finalSum = sum*alpha + C*beta
_v_mac_f32 v[vgprValuC+95], v91, s[sgprBeta]       // finalSum = sum*alpha + C*beta
_v_mac_f32 v[vgprValuC+100], v96, s[sgprBeta]      // finalSum = sum*alpha + C*beta
_v_mac_f32 v[vgprValuC+101], v97, s[sgprBeta]      // finalSum = sum*alpha + C*beta
	;; [unrolled: 1-line block ×4, first 2 shown]
_v_mac_f32 v[vgprValuC+108], v104, s[sgprBeta]     // finalSum = sum*alpha + C*beta
_v_mac_f32 v[vgprValuC+109], v105, s[sgprBeta]     // finalSum = sum*alpha + C*beta
	;; [unrolled: 1-line block ×48, first 2 shown]
_buffer_store_b128 v[76:79], v70, s[sgprSrdD:sgprSrdD+3], 0, offen, offset:0,  sc0 sc1 // store D
_buffer_store_b128 v[84:87], v70, s[sgprSrdD:sgprSrdD+3], 0, offen, offset:256,  sc0 sc1 // store D
s_mul_i32 s54, s[sgprStrideD1J], 64                // scale StrideD *= numRows(16) * bpe
s_add_u32  s[sgprSrdD+0], s[sgprSrdD+0], s54       // incToNextRow: gra SRD += inc(lower)
s_addc_u32  s[sgprSrdD+1], s[sgprSrdD+1], 0        // incToNextRow: gra SRD += inc(upper)
_buffer_store_b128 v[92:95], v70, s[sgprSrdD:sgprSrdD+3], 0, offen, offset:0,  sc0 sc1 // store D
_buffer_store_b128 v[100:103], v70, s[sgprSrdD:sgprSrdD+3], 0, offen, offset:256,  sc0 sc1 // store D
s_mul_i32 s54, s[sgprStrideD1J], 64                // scale StrideD *= numRows(16) * bpe
s_add_u32  s[sgprSrdD+0], s[sgprSrdD+0], s54       // incToNextRow: gra SRD += inc(lower)
s_addc_u32  s[sgprSrdD+1], s[sgprSrdD+1], 0        // incToNextRow: gra SRD += inc(upper)
	;; [unrolled: 5-line block ×7, first 2 shown]
_buffer_store_b128 v[188:191], v70, s[sgprSrdD:sgprSrdD+3], 0, offen, offset:0,  sc0 sc1 // store D
_buffer_store_b128 v[200:203], v70, s[sgprSrdD:sgprSrdD+3], 0, offen, offset:256,  sc0 sc1 // store D
s_nop 0                                            // 1 wait state required when next inst writes vgprs held by previous dwordx4 store inst
s_branch label_GW_End_118                          // jump to end
GW_B1_E1_117:

/* edge=1, allocate 6 sgpr. perBatchTmpS=4 perBatchMaskS=2 perElementMaskS=0 elementsPerBatch=16 */
/* optSingleColVgpr=0 optSharedColVgpr=0 optSGPRUsage=BufferLoad_Edge_Mask optSrdIncForRow=0 */
s_sleep 3 // optimization: sync and wait
s_barrier

/******************************************/
/* Global Write Alpha Beta Edge Batch #0 (d1,d0,vc1,vc0) = */
/*    (0,0,0,0:vw1); (0,0,0,1:vw1); (0,0,0,2:vw1); (0,0,0,3:vw1); (0,1,0,0:vw1); (0,1,0,1:vw1); (0,1,0,2:vw1); (0,1,0,3:vw1); (1,0,0,0:vw1); (1,0,0,1:vw1); (1,0,0,2:vw1); (1,0,0,3:vw1); (1,1,0,0:vw1); (1,1,0,1:vw1); (1,1,0,2:vw1); (1,1,0,3:vw1) */
/******************************************/

/* calc coords, apply mask, and issue loads (if necessary) */

/* rC *= alpha batchElements=[(0, 0, 0, 0), (0, 0, 0, 1), (0, 0, 0, 2), (0, 0, 0, 3), (0, 1, 0, 0), (0, 1, 0, 1), (0, 1, 0, 2), (0, 1, 0, 3), (1, 0, 0, 0), (1, 0, 0, 1), (1, 0, 0, 2), (1, 0, 0, 3), (1, 1, 0, 0), (1, 1, 0, 1), (1, 1, 0, 2), (1, 1, 0, 3)] */
v_mul_f32 v[vgprValuC+73], s[sgprAlpha], v[vgprValuC+0] // Multiply MI out reg with alpha
v_mul_f32 v[vgprValuC+77], s[sgprAlpha], v[vgprValuC+1] // Multiply MI out reg with alpha
	;; [unrolled: 1-line block ×16, first 2 shown]
/* (d1,vc1,d0,vc0)=(0,0,0,0) */
v_cmp_lt_u32 s[54:55], v64, s[sgprSizeI]           // coord0 < size0
v_cmp_lt_u32 s[58:59], v65, s[sgprSizeJ]           // coord1 < size1
s_and_b64 s[58:59], s[54:55], s[58:59]             // in0 && in1
_v_add_lshl_u32 v71, v66, v64, 0x2                 // scaleToBpe: accumulate d0 lower and *= bpe into Cin addr
v_cndmask_b32 v71, -1, v71, s[58:59]               // LDC clip if OOB. offset
_v_add_lshl_u32 v70, v67, v64, 0x2                 // scaleToBpe: accumulate d0 lower and *= bpe into Cin addr
v_cndmask_b32 v70, -1, v70, s[58:59]               // LDD clip if OOB. offset
/* (d1,vc1,d0,vc0)=(0,0,0,1) */
_v_add_co_u32 v68, vcc, v64, 1                     // coord0.1: coord0 += d0*sg0*VW + vc0
v_cmp_lt_u32 s[54:55], v68, s[sgprSizeI]           // coord0 < size0
v_cmp_lt_u32 s[58:59], v65, s[sgprSizeJ]           // coord1 < size1
s_and_b64 s[58:59], s[54:55], s[58:59]             // in0 && in1
_v_add_lshl_u32 v75, v66, v68, 0x2                 // scaleToBpe: accumulate d0 lower and *= bpe into Cin addr
v_cndmask_b32 v75, -1, v75, s[58:59]               // LDC clip if OOB. offset
_v_add_lshl_u32 v74, v67, v68, 0x2                 // scaleToBpe: accumulate d0 lower and *= bpe into Cin addr
v_cndmask_b32 v74, -1, v74, s[58:59]               // LDD clip if OOB. offset
/* (d1,vc1,d0,vc0)=(0,0,0,2) */
_v_add_co_u32 v68, vcc, v64, 2                     // coord0.1: coord0 += d0*sg0*VW + vc0
v_cmp_lt_u32 s[54:55], v68, s[sgprSizeI]           // coord0 < size0
v_cmp_lt_u32 s[58:59], v65, s[sgprSizeJ]           // coord1 < size1
s_and_b64 s[58:59], s[54:55], s[58:59]             // in0 && in1
_v_add_lshl_u32 v79, v66, v68, 0x2                 // scaleToBpe: accumulate d0 lower and *= bpe into Cin addr
v_cndmask_b32 v79, -1, v79, s[58:59]               // LDC clip if OOB. offset
_v_add_lshl_u32 v78, v67, v68, 0x2                 // scaleToBpe: accumulate d0 lower and *= bpe into Cin addr
v_cndmask_b32 v78, -1, v78, s[58:59]               // LDD clip if OOB. offset
/* (d1,vc1,d0,vc0)=(0,0,0,3) */
_v_add_co_u32 v68, vcc, v64, 3                     // coord0.1: coord0 += d0*sg0*VW + vc0
v_cmp_lt_u32 s[54:55], v68, s[sgprSizeI]           // coord0 < size0
v_cmp_lt_u32 s[58:59], v65, s[sgprSizeJ]           // coord1 < size1
s_and_b64 s[58:59], s[54:55], s[58:59]             // in0 && in1
_v_add_lshl_u32 v83, v66, v68, 0x2                 // scaleToBpe: accumulate d0 lower and *= bpe into Cin addr
v_cndmask_b32 v83, -1, v83, s[58:59]               // LDC clip if OOB. offset
_v_add_lshl_u32 v82, v67, v68, 0x2                 // scaleToBpe: accumulate d0 lower and *= bpe into Cin addr
v_cndmask_b32 v82, -1, v82, s[58:59]               // LDD clip if OOB. offset
/* (d1,vc1,d0,vc0)=(0,0,1,0) */
_v_add_co_u32 v68, vcc, v64, 64                    // coord0.1: coord0 += d0*sg0*VW + vc0
v_cmp_lt_u32 s[54:55], v68, s[sgprSizeI]           // coord0 < size0
v_cmp_lt_u32 s[58:59], v65, s[sgprSizeJ]           // coord1 < size1
s_and_b64 s[58:59], s[54:55], s[58:59]             // in0 && in1
_v_add_lshl_u32 v87, v66, v68, 0x2                 // scaleToBpe: accumulate d0 lower and *= bpe into Cin addr
v_cndmask_b32 v87, -1, v87, s[58:59]               // LDC clip if OOB. offset
_v_add_lshl_u32 v86, v67, v68, 0x2                 // scaleToBpe: accumulate d0 lower and *= bpe into Cin addr
v_cndmask_b32 v86, -1, v86, s[58:59]               // LDD clip if OOB. offset
/* (d1,vc1,d0,vc0)=(0,0,1,1) */
s_mov_b32 s54, 65                                  // coordOffset0 d0=1 vc0=1
_v_add_co_u32 v68, vcc, v64, s54                   // coord0.2: coord0 += d0*sg0*VW + vc0
v_cmp_lt_u32 s[54:55], v68, s[sgprSizeI]           // coord0 < size0
v_cmp_lt_u32 s[58:59], v65, s[sgprSizeJ]           // coord1 < size1
s_and_b64 s[58:59], s[54:55], s[58:59]             // in0 && in1
_v_add_lshl_u32 v91, v66, v68, 0x2                 // scaleToBpe: accumulate d0 lower and *= bpe into Cin addr
v_cndmask_b32 v91, -1, v91, s[58:59]               // LDC clip if OOB. offset
_v_add_lshl_u32 v90, v67, v68, 0x2                 // scaleToBpe: accumulate d0 lower and *= bpe into Cin addr
v_cndmask_b32 v90, -1, v90, s[58:59]               // LDD clip if OOB. offset
/* (d1,vc1,d0,vc0)=(0,0,1,2) */
s_mov_b32 s54, 66                                  // coordOffset0 d0=1 vc0=2
_v_add_co_u32 v68, vcc, v64, s54                   // coord0.2: coord0 += d0*sg0*VW + vc0
	;; [unrolled: 10-line block ×3, first 2 shown]
v_cmp_lt_u32 s[54:55], v68, s[sgprSizeI]           // coord0 < size0
v_cmp_lt_u32 s[58:59], v65, s[sgprSizeJ]           // coord1 < size1
s_and_b64 s[58:59], s[54:55], s[58:59]             // in0 && in1
_v_add_lshl_u32 v99, v66, v68, 0x2                 // scaleToBpe: accumulate d0 lower and *= bpe into Cin addr
v_cndmask_b32 v99, -1, v99, s[58:59]               // LDC clip if OOB. offset
_v_add_lshl_u32 v98, v67, v68, 0x2                 // scaleToBpe: accumulate d0 lower and *= bpe into Cin addr
v_cndmask_b32 v98, -1, v98, s[58:59]               // LDD clip if OOB. offset
/* (d1,vc1,d0,vc0)=(1,0,0,0) */
_v_add_co_u32 v65, vcc, v65, 16                    // coord1.1: coord1Vgpr += d1*sg1*VW + vc1

/* Fix for UseInitialStridesCD, emitAddressSetupCode */
s_mul_i32 s54, s[sgprStrideC1J], 16                // scale stride
_v_add_u32 v66, v66, s54                           // ROWINC- Move cinRowPtr to next row
s_mul_i32 s54, s[sgprStrideD1J], 16                // scale stride
_v_add_u32 v67, v67, s54                           // Move coutRowPtr to next row
v_cmp_lt_u32 s[54:55], v64, s[sgprSizeI]           // coord0 < size0
v_cmp_lt_u32 s[58:59], v65, s[sgprSizeJ]           // coord1 < size1
s_and_b64 s[58:59], s[54:55], s[58:59]             // in0 && in1
_v_add_lshl_u32 v103, v66, v64, 0x2                // scaleToBpe: accumulate d0 lower and *= bpe into Cin addr
v_cndmask_b32 v103, -1, v103, s[58:59]             // LDC clip if OOB. offset
_v_add_lshl_u32 v102, v67, v64, 0x2                // scaleToBpe: accumulate d0 lower and *= bpe into Cin addr
v_cndmask_b32 v102, -1, v102, s[58:59]             // LDD clip if OOB. offset
/* (d1,vc1,d0,vc0)=(1,0,0,1) */
_v_add_co_u32 v68, vcc, v64, 1                     // coord0.1: coord0 += d0*sg0*VW + vc0
v_cmp_lt_u32 s[54:55], v68, s[sgprSizeI]           // coord0 < size0
v_cmp_lt_u32 s[58:59], v65, s[sgprSizeJ]           // coord1 < size1
s_and_b64 s[58:59], s[54:55], s[58:59]             // in0 && in1
_v_add_lshl_u32 v107, v66, v68, 0x2                // scaleToBpe: accumulate d0 lower and *= bpe into Cin addr
v_cndmask_b32 v107, -1, v107, s[58:59]             // LDC clip if OOB. offset
_v_add_lshl_u32 v106, v67, v68, 0x2                // scaleToBpe: accumulate d0 lower and *= bpe into Cin addr
v_cndmask_b32 v106, -1, v106, s[58:59]             // LDD clip if OOB. offset
/* (d1,vc1,d0,vc0)=(1,0,0,2) */
_v_add_co_u32 v68, vcc, v64, 2                     // coord0.1: coord0 += d0*sg0*VW + vc0
	;; [unrolled: 9-line block ×3, first 2 shown]
v_cmp_lt_u32 s[54:55], v68, s[sgprSizeI]           // coord0 < size0
v_cmp_lt_u32 s[58:59], v65, s[sgprSizeJ]           // coord1 < size1
s_and_b64 s[58:59], s[54:55], s[58:59]             // in0 && in1
_v_add_lshl_u32 v115, v66, v68, 0x2                // scaleToBpe: accumulate d0 lower and *= bpe into Cin addr
v_cndmask_b32 v115, -1, v115, s[58:59]             // LDC clip if OOB. offset
_v_add_lshl_u32 v114, v67, v68, 0x2                // scaleToBpe: accumulate d0 lower and *= bpe into Cin addr
v_cndmask_b32 v114, -1, v114, s[58:59]             // LDD clip if OOB. offset
/* (d1,vc1,d0,vc0)=(1,0,1,0) */
_v_add_co_u32 v68, vcc, v64, 64                    // coord0.1: coord0 += d0*sg0*VW + vc0
v_cmp_lt_u32 s[54:55], v68, s[sgprSizeI]           // coord0 < size0
v_cmp_lt_u32 s[58:59], v65, s[sgprSizeJ]           // coord1 < size1
s_and_b64 s[58:59], s[54:55], s[58:59]             // in0 && in1
_v_add_lshl_u32 v119, v66, v68, 0x2                // scaleToBpe: accumulate d0 lower and *= bpe into Cin addr
v_cndmask_b32 v119, -1, v119, s[58:59]             // LDC clip if OOB. offset
_v_add_lshl_u32 v118, v67, v68, 0x2                // scaleToBpe: accumulate d0 lower and *= bpe into Cin addr
v_cndmask_b32 v118, -1, v118, s[58:59]             // LDD clip if OOB. offset
/* (d1,vc1,d0,vc0)=(1,0,1,1) */
s_mov_b32 s54, 65                                  // coordOffset0 d0=1 vc0=1
_v_add_co_u32 v68, vcc, v64, s54                   // coord0.2: coord0 += d0*sg0*VW + vc0
v_cmp_lt_u32 s[54:55], v68, s[sgprSizeI]           // coord0 < size0
v_cmp_lt_u32 s[58:59], v65, s[sgprSizeJ]           // coord1 < size1
s_and_b64 s[58:59], s[54:55], s[58:59]             // in0 && in1
_v_add_lshl_u32 v123, v66, v68, 0x2                // scaleToBpe: accumulate d0 lower and *= bpe into Cin addr
v_cndmask_b32 v123, -1, v123, s[58:59]             // LDC clip if OOB. offset
_v_add_lshl_u32 v122, v67, v68, 0x2                // scaleToBpe: accumulate d0 lower and *= bpe into Cin addr
v_cndmask_b32 v122, -1, v122, s[58:59]             // LDD clip if OOB. offset
/* (d1,vc1,d0,vc0)=(1,0,1,2) */
s_mov_b32 s54, 66                                  // coordOffset0 d0=1 vc0=2
_v_add_co_u32 v68, vcc, v64, s54                   // coord0.2: coord0 += d0*sg0*VW + vc0
v_cmp_lt_u32 s[54:55], v68, s[sgprSizeI]           // coord0 < size0
v_cmp_lt_u32 s[58:59], v65, s[sgprSizeJ]           // coord1 < size1
s_and_b64 s[58:59], s[54:55], s[58:59]             // in0 && in1
_v_add_lshl_u32 v127, v66, v68, 0x2                // scaleToBpe: accumulate d0 lower and *= bpe into Cin addr
v_cndmask_b32 v127, -1, v127, s[58:59]             // LDC clip if OOB. offset
_v_add_lshl_u32 v126, v67, v68, 0x2                // scaleToBpe: accumulate d0 lower and *= bpe into Cin addr
v_cndmask_b32 v126, -1, v126, s[58:59]             // LDD clip if OOB. offset
/* (d1,vc1,d0,vc0)=(1,0,1,3) */
s_mov_b32 s54, 67                                  // coordOffset0 d0=1 vc0=3
_v_add_co_u32 v68, vcc, v64, s54                   // coord0.2: coord0 += d0*sg0*VW + vc0
v_cmp_lt_u32 s[54:55], v68, s[sgprSizeI]           // coord0 < size0
v_cmp_lt_u32 s[58:59], v65, s[sgprSizeJ]           // coord1 < size1
s_and_b64 s[58:59], s[54:55], s[58:59]             // in0 && in1
_v_add_lshl_u32 v131, v66, v68, 0x2                // scaleToBpe: accumulate d0 lower and *= bpe into Cin addr
v_cndmask_b32 v131, -1, v131, s[58:59]             // LDC clip if OOB. offset
_v_add_lshl_u32 v130, v67, v68, 0x2                // scaleToBpe: accumulate d0 lower and *= bpe into Cin addr
v_cndmask_b32 v130, -1, v130, s[58:59]             // LDD clip if OOB. offset
_buffer_load_b32 v72, v71, s[sgprSrdC:sgprSrdC+3], 0, offen offset:0,  sc0 sc1 // load C for beta calc
_buffer_load_b32 v76, v75, s[sgprSrdC:sgprSrdC+3], 0, offen offset:0,  sc0 sc1 // load C for beta calc
_buffer_load_b32 v80, v79, s[sgprSrdC:sgprSrdC+3], 0, offen offset:0,  sc0 sc1 // load C for beta calc
_buffer_load_b32 v84, v83, s[sgprSrdC:sgprSrdC+3], 0, offen offset:0,  sc0 sc1 // load C for beta calc
_buffer_load_b32 v88, v87, s[sgprSrdC:sgprSrdC+3], 0, offen offset:0,  sc0 sc1 // load C for beta calc
_buffer_load_b32 v92, v91, s[sgprSrdC:sgprSrdC+3], 0, offen offset:0,  sc0 sc1 // load C for beta calc
_buffer_load_b32 v96, v95, s[sgprSrdC:sgprSrdC+3], 0, offen offset:0,  sc0 sc1 // load C for beta calc
_buffer_load_b32 v100, v99, s[sgprSrdC:sgprSrdC+3], 0, offen offset:0,  sc0 sc1 // load C for beta calc
_buffer_load_b32 v104, v103, s[sgprSrdC:sgprSrdC+3], 0, offen offset:0,  sc0 sc1 // load C for beta calc
_buffer_load_b32 v108, v107, s[sgprSrdC:sgprSrdC+3], 0, offen offset:0,  sc0 sc1 // load C for beta calc
_buffer_load_b32 v112, v111, s[sgprSrdC:sgprSrdC+3], 0, offen offset:0,  sc0 sc1 // load C for beta calc
_buffer_load_b32 v116, v115, s[sgprSrdC:sgprSrdC+3], 0, offen offset:0,  sc0 sc1 // load C for beta calc
_buffer_load_b32 v120, v119, s[sgprSrdC:sgprSrdC+3], 0, offen offset:0,  sc0 sc1 // load C for beta calc
_buffer_load_b32 v124, v123, s[sgprSrdC:sgprSrdC+3], 0, offen offset:0,  sc0 sc1 // load C for beta calc
_buffer_load_b32 v128, v127, s[sgprSrdC:sgprSrdC+3], 0, offen offset:0,  sc0 sc1 // load C for beta calc
_buffer_load_b32 v132, v131, s[sgprSrdC:sgprSrdC+3], 0, offen offset:0,  sc0 sc1 // load C for beta calc
s_sleep 3 // optimization: sync and wait
s_barrier
s_waitcnt vmcnt(0)                                 // wait C

/* apply mask, calc new C and issue writes */
_v_mac_f32 v[vgprValuC+73], v72, s[sgprBeta]       // finalSum = sum*alpha + C*beta
_v_mac_f32 v[vgprValuC+77], v76, s[sgprBeta]       // finalSum = sum*alpha + C*beta
	;; [unrolled: 1-line block ×7, first 2 shown]
_v_mac_f32 v[vgprValuC+101], v100, s[sgprBeta]     // finalSum = sum*alpha + C*beta
_v_mac_f32 v[vgprValuC+105], v104, s[sgprBeta]     // finalSum = sum*alpha + C*beta
	;; [unrolled: 1-line block ×9, first 2 shown]
_buffer_store_b32 v73, v70, s[sgprSrdD:sgprSrdD+3], 0, offen, offset:0,  sc0 sc1 // store D
_buffer_store_b32 v77, v74, s[sgprSrdD:sgprSrdD+3], 0, offen, offset:0,  sc0 sc1 // store D
	;; [unrolled: 1-line block ×16, first 2 shown]
s_nop 0                                            // 1 wait state required when next inst writes vgprs held by previous dwordx4 store inst
/* optSingleColVgpr=0 optSharedColVgpr=0 optSGPRUsage=BufferLoad_Edge_Mask optSrdIncForRow=0 */
s_sleep 3 // optimization: sync and wait
s_barrier

/******************************************/
/* Global Write Alpha Beta Edge Batch #1 (d1,d0,vc1,vc0) = */
/*    (2,0,0,0:vw1); (2,0,0,1:vw1); (2,0,0,2:vw1); (2,0,0,3:vw1); (2,1,0,0:vw1); (2,1,0,1:vw1); (2,1,0,2:vw1); (2,1,0,3:vw1); (3,0,0,0:vw1); (3,0,0,1:vw1); (3,0,0,2:vw1); (3,0,0,3:vw1); (3,1,0,0:vw1); (3,1,0,1:vw1); (3,1,0,2:vw1); (3,1,0,3:vw1) */
/******************************************/

/* calc coords, apply mask, and issue loads (if necessary) */

/* rC *= alpha batchElements=[(2, 0, 0, 0), (2, 0, 0, 1), (2, 0, 0, 2), (2, 0, 0, 3), (2, 1, 0, 0), (2, 1, 0, 1), (2, 1, 0, 2), (2, 1, 0, 3), (3, 0, 0, 0), (3, 0, 0, 1), (3, 0, 0, 2), (3, 0, 0, 3), (3, 1, 0, 0), (3, 1, 0, 1), (3, 1, 0, 2), (3, 1, 0, 3)] */
v_mul_f32 v[vgprValuC+73], s[sgprAlpha], v[vgprValuC+16] // Multiply MI out reg with alpha
v_mul_f32 v[vgprValuC+77], s[sgprAlpha], v[vgprValuC+17] // Multiply MI out reg with alpha
v_mul_f32 v[vgprValuC+81], s[sgprAlpha], v[vgprValuC+18] // Multiply MI out reg with alpha
v_mul_f32 v[vgprValuC+85], s[sgprAlpha], v[vgprValuC+19] // Multiply MI out reg with alpha
v_mul_f32 v[vgprValuC+89], s[sgprAlpha], v[vgprValuC+20] // Multiply MI out reg with alpha
v_mul_f32 v[vgprValuC+93], s[sgprAlpha], v[vgprValuC+21] // Multiply MI out reg with alpha
v_mul_f32 v[vgprValuC+97], s[sgprAlpha], v[vgprValuC+22] // Multiply MI out reg with alpha
v_mul_f32 v[vgprValuC+101], s[sgprAlpha], v[vgprValuC+23] // Multiply MI out reg with alpha
v_mul_f32 v[vgprValuC+105], s[sgprAlpha], v[vgprValuC+24] // Multiply MI out reg with alpha
v_mul_f32 v[vgprValuC+109], s[sgprAlpha], v[vgprValuC+25] // Multiply MI out reg with alpha
v_mul_f32 v[vgprValuC+113], s[sgprAlpha], v[vgprValuC+26] // Multiply MI out reg with alpha
v_mul_f32 v[vgprValuC+117], s[sgprAlpha], v[vgprValuC+27] // Multiply MI out reg with alpha
v_mul_f32 v[vgprValuC+121], s[sgprAlpha], v[vgprValuC+28] // Multiply MI out reg with alpha
v_mul_f32 v[vgprValuC+125], s[sgprAlpha], v[vgprValuC+29] // Multiply MI out reg with alpha
v_mul_f32 v[vgprValuC+129], s[sgprAlpha], v[vgprValuC+30] // Multiply MI out reg with alpha
v_mul_f32 v[vgprValuC+133], s[sgprAlpha], v[vgprValuC+31] // Multiply MI out reg with alpha
/* (d1,vc1,d0,vc0)=(2,0,0,0) */
_v_add_co_u32 v65, vcc, v65, 16                    // coord1.1: coord1Vgpr += d1*sg1*VW + vc1

/* Fix for UseInitialStridesCD, emitAddressSetupCode */
s_mul_i32 s54, s[sgprStrideC1J], 16                // scale stride
_v_add_u32 v66, v66, s54                           // ROWINC- Move cinRowPtr to next row
s_mul_i32 s54, s[sgprStrideD1J], 16                // scale stride
_v_add_u32 v67, v67, s54                           // Move coutRowPtr to next row
v_cmp_lt_u32 s[54:55], v64, s[sgprSizeI]           // coord0 < size0
v_cmp_lt_u32 s[58:59], v65, s[sgprSizeJ]           // coord1 < size1
s_and_b64 s[58:59], s[54:55], s[58:59]             // in0 && in1
_v_add_lshl_u32 v71, v66, v64, 0x2                 // scaleToBpe: accumulate d0 lower and *= bpe into Cin addr
v_cndmask_b32 v71, -1, v71, s[58:59]               // LDC clip if OOB. offset
_v_add_lshl_u32 v70, v67, v64, 0x2                 // scaleToBpe: accumulate d0 lower and *= bpe into Cin addr
v_cndmask_b32 v70, -1, v70, s[58:59]               // LDD clip if OOB. offset
/* (d1,vc1,d0,vc0)=(2,0,0,1) */
_v_add_co_u32 v68, vcc, v64, 1                     // coord0.1: coord0 += d0*sg0*VW + vc0
v_cmp_lt_u32 s[54:55], v68, s[sgprSizeI]           // coord0 < size0
v_cmp_lt_u32 s[58:59], v65, s[sgprSizeJ]           // coord1 < size1
s_and_b64 s[58:59], s[54:55], s[58:59]             // in0 && in1
_v_add_lshl_u32 v75, v66, v68, 0x2                 // scaleToBpe: accumulate d0 lower and *= bpe into Cin addr
v_cndmask_b32 v75, -1, v75, s[58:59]               // LDC clip if OOB. offset
_v_add_lshl_u32 v74, v67, v68, 0x2                 // scaleToBpe: accumulate d0 lower and *= bpe into Cin addr
v_cndmask_b32 v74, -1, v74, s[58:59]               // LDD clip if OOB. offset
/* (d1,vc1,d0,vc0)=(2,0,0,2) */
_v_add_co_u32 v68, vcc, v64, 2                     // coord0.1: coord0 += d0*sg0*VW + vc0
	;; [unrolled: 9-line block ×3, first 2 shown]
v_cmp_lt_u32 s[54:55], v68, s[sgprSizeI]           // coord0 < size0
v_cmp_lt_u32 s[58:59], v65, s[sgprSizeJ]           // coord1 < size1
s_and_b64 s[58:59], s[54:55], s[58:59]             // in0 && in1
_v_add_lshl_u32 v83, v66, v68, 0x2                 // scaleToBpe: accumulate d0 lower and *= bpe into Cin addr
v_cndmask_b32 v83, -1, v83, s[58:59]               // LDC clip if OOB. offset
_v_add_lshl_u32 v82, v67, v68, 0x2                 // scaleToBpe: accumulate d0 lower and *= bpe into Cin addr
v_cndmask_b32 v82, -1, v82, s[58:59]               // LDD clip if OOB. offset
/* (d1,vc1,d0,vc0)=(2,0,1,0) */
_v_add_co_u32 v68, vcc, v64, 64                    // coord0.1: coord0 += d0*sg0*VW + vc0
v_cmp_lt_u32 s[54:55], v68, s[sgprSizeI]           // coord0 < size0
v_cmp_lt_u32 s[58:59], v65, s[sgprSizeJ]           // coord1 < size1
s_and_b64 s[58:59], s[54:55], s[58:59]             // in0 && in1
_v_add_lshl_u32 v87, v66, v68, 0x2                 // scaleToBpe: accumulate d0 lower and *= bpe into Cin addr
v_cndmask_b32 v87, -1, v87, s[58:59]               // LDC clip if OOB. offset
_v_add_lshl_u32 v86, v67, v68, 0x2                 // scaleToBpe: accumulate d0 lower and *= bpe into Cin addr
v_cndmask_b32 v86, -1, v86, s[58:59]               // LDD clip if OOB. offset
/* (d1,vc1,d0,vc0)=(2,0,1,1) */
s_mov_b32 s54, 65                                  // coordOffset0 d0=1 vc0=1
_v_add_co_u32 v68, vcc, v64, s54                   // coord0.2: coord0 += d0*sg0*VW + vc0
v_cmp_lt_u32 s[54:55], v68, s[sgprSizeI]           // coord0 < size0
v_cmp_lt_u32 s[58:59], v65, s[sgprSizeJ]           // coord1 < size1
s_and_b64 s[58:59], s[54:55], s[58:59]             // in0 && in1
_v_add_lshl_u32 v91, v66, v68, 0x2                 // scaleToBpe: accumulate d0 lower and *= bpe into Cin addr
v_cndmask_b32 v91, -1, v91, s[58:59]               // LDC clip if OOB. offset
_v_add_lshl_u32 v90, v67, v68, 0x2                 // scaleToBpe: accumulate d0 lower and *= bpe into Cin addr
v_cndmask_b32 v90, -1, v90, s[58:59]               // LDD clip if OOB. offset
/* (d1,vc1,d0,vc0)=(2,0,1,2) */
s_mov_b32 s54, 66                                  // coordOffset0 d0=1 vc0=2
_v_add_co_u32 v68, vcc, v64, s54                   // coord0.2: coord0 += d0*sg0*VW + vc0
v_cmp_lt_u32 s[54:55], v68, s[sgprSizeI]           // coord0 < size0
v_cmp_lt_u32 s[58:59], v65, s[sgprSizeJ]           // coord1 < size1
s_and_b64 s[58:59], s[54:55], s[58:59]             // in0 && in1
_v_add_lshl_u32 v95, v66, v68, 0x2                 // scaleToBpe: accumulate d0 lower and *= bpe into Cin addr
v_cndmask_b32 v95, -1, v95, s[58:59]               // LDC clip if OOB. offset
_v_add_lshl_u32 v94, v67, v68, 0x2                 // scaleToBpe: accumulate d0 lower and *= bpe into Cin addr
v_cndmask_b32 v94, -1, v94, s[58:59]               // LDD clip if OOB. offset
/* (d1,vc1,d0,vc0)=(2,0,1,3) */
s_mov_b32 s54, 67                                  // coordOffset0 d0=1 vc0=3
_v_add_co_u32 v68, vcc, v64, s54                   // coord0.2: coord0 += d0*sg0*VW + vc0
v_cmp_lt_u32 s[54:55], v68, s[sgprSizeI]           // coord0 < size0
v_cmp_lt_u32 s[58:59], v65, s[sgprSizeJ]           // coord1 < size1
s_and_b64 s[58:59], s[54:55], s[58:59]             // in0 && in1
_v_add_lshl_u32 v99, v66, v68, 0x2                 // scaleToBpe: accumulate d0 lower and *= bpe into Cin addr
v_cndmask_b32 v99, -1, v99, s[58:59]               // LDC clip if OOB. offset
_v_add_lshl_u32 v98, v67, v68, 0x2                 // scaleToBpe: accumulate d0 lower and *= bpe into Cin addr
v_cndmask_b32 v98, -1, v98, s[58:59]               // LDD clip if OOB. offset
/* (d1,vc1,d0,vc0)=(3,0,0,0) */
_v_add_co_u32 v65, vcc, v65, 16                    // coord1.1: coord1Vgpr += d1*sg1*VW + vc1

/* Fix for UseInitialStridesCD, emitAddressSetupCode */
s_mul_i32 s54, s[sgprStrideC1J], 16                // scale stride
_v_add_u32 v66, v66, s54                           // ROWINC- Move cinRowPtr to next row
s_mul_i32 s54, s[sgprStrideD1J], 16                // scale stride
_v_add_u32 v67, v67, s54                           // Move coutRowPtr to next row
v_cmp_lt_u32 s[54:55], v64, s[sgprSizeI]           // coord0 < size0
v_cmp_lt_u32 s[58:59], v65, s[sgprSizeJ]           // coord1 < size1
s_and_b64 s[58:59], s[54:55], s[58:59]             // in0 && in1
_v_add_lshl_u32 v103, v66, v64, 0x2                // scaleToBpe: accumulate d0 lower and *= bpe into Cin addr
v_cndmask_b32 v103, -1, v103, s[58:59]             // LDC clip if OOB. offset
_v_add_lshl_u32 v102, v67, v64, 0x2                // scaleToBpe: accumulate d0 lower and *= bpe into Cin addr
v_cndmask_b32 v102, -1, v102, s[58:59]             // LDD clip if OOB. offset
/* (d1,vc1,d0,vc0)=(3,0,0,1) */
_v_add_co_u32 v68, vcc, v64, 1                     // coord0.1: coord0 += d0*sg0*VW + vc0
v_cmp_lt_u32 s[54:55], v68, s[sgprSizeI]           // coord0 < size0
v_cmp_lt_u32 s[58:59], v65, s[sgprSizeJ]           // coord1 < size1
s_and_b64 s[58:59], s[54:55], s[58:59]             // in0 && in1
_v_add_lshl_u32 v107, v66, v68, 0x2                // scaleToBpe: accumulate d0 lower and *= bpe into Cin addr
v_cndmask_b32 v107, -1, v107, s[58:59]             // LDC clip if OOB. offset
_v_add_lshl_u32 v106, v67, v68, 0x2                // scaleToBpe: accumulate d0 lower and *= bpe into Cin addr
v_cndmask_b32 v106, -1, v106, s[58:59]             // LDD clip if OOB. offset
/* (d1,vc1,d0,vc0)=(3,0,0,2) */
_v_add_co_u32 v68, vcc, v64, 2                     // coord0.1: coord0 += d0*sg0*VW + vc0
v_cmp_lt_u32 s[54:55], v68, s[sgprSizeI]           // coord0 < size0
v_cmp_lt_u32 s[58:59], v65, s[sgprSizeJ]           // coord1 < size1
s_and_b64 s[58:59], s[54:55], s[58:59]             // in0 && in1
_v_add_lshl_u32 v111, v66, v68, 0x2                // scaleToBpe: accumulate d0 lower and *= bpe into Cin addr
v_cndmask_b32 v111, -1, v111, s[58:59]             // LDC clip if OOB. offset
_v_add_lshl_u32 v110, v67, v68, 0x2                // scaleToBpe: accumulate d0 lower and *= bpe into Cin addr
v_cndmask_b32 v110, -1, v110, s[58:59]             // LDD clip if OOB. offset
/* (d1,vc1,d0,vc0)=(3,0,0,3) */
_v_add_co_u32 v68, vcc, v64, 3                     // coord0.1: coord0 += d0*sg0*VW + vc0
v_cmp_lt_u32 s[54:55], v68, s[sgprSizeI]           // coord0 < size0
v_cmp_lt_u32 s[58:59], v65, s[sgprSizeJ]           // coord1 < size1
s_and_b64 s[58:59], s[54:55], s[58:59]             // in0 && in1
_v_add_lshl_u32 v115, v66, v68, 0x2                // scaleToBpe: accumulate d0 lower and *= bpe into Cin addr
v_cndmask_b32 v115, -1, v115, s[58:59]             // LDC clip if OOB. offset
_v_add_lshl_u32 v114, v67, v68, 0x2                // scaleToBpe: accumulate d0 lower and *= bpe into Cin addr
v_cndmask_b32 v114, -1, v114, s[58:59]             // LDD clip if OOB. offset
/* (d1,vc1,d0,vc0)=(3,0,1,0) */
_v_add_co_u32 v68, vcc, v64, 64                    // coord0.1: coord0 += d0*sg0*VW + vc0
v_cmp_lt_u32 s[54:55], v68, s[sgprSizeI]           // coord0 < size0
v_cmp_lt_u32 s[58:59], v65, s[sgprSizeJ]           // coord1 < size1
s_and_b64 s[58:59], s[54:55], s[58:59]             // in0 && in1
_v_add_lshl_u32 v119, v66, v68, 0x2                // scaleToBpe: accumulate d0 lower and *= bpe into Cin addr
v_cndmask_b32 v119, -1, v119, s[58:59]             // LDC clip if OOB. offset
_v_add_lshl_u32 v118, v67, v68, 0x2                // scaleToBpe: accumulate d0 lower and *= bpe into Cin addr
v_cndmask_b32 v118, -1, v118, s[58:59]             // LDD clip if OOB. offset
/* (d1,vc1,d0,vc0)=(3,0,1,1) */
s_mov_b32 s54, 65                                  // coordOffset0 d0=1 vc0=1
_v_add_co_u32 v68, vcc, v64, s54                   // coord0.2: coord0 += d0*sg0*VW + vc0
v_cmp_lt_u32 s[54:55], v68, s[sgprSizeI]           // coord0 < size0
v_cmp_lt_u32 s[58:59], v65, s[sgprSizeJ]           // coord1 < size1
s_and_b64 s[58:59], s[54:55], s[58:59]             // in0 && in1
_v_add_lshl_u32 v123, v66, v68, 0x2                // scaleToBpe: accumulate d0 lower and *= bpe into Cin addr
v_cndmask_b32 v123, -1, v123, s[58:59]             // LDC clip if OOB. offset
_v_add_lshl_u32 v122, v67, v68, 0x2                // scaleToBpe: accumulate d0 lower and *= bpe into Cin addr
v_cndmask_b32 v122, -1, v122, s[58:59]             // LDD clip if OOB. offset
/* (d1,vc1,d0,vc0)=(3,0,1,2) */
s_mov_b32 s54, 66                                  // coordOffset0 d0=1 vc0=2
_v_add_co_u32 v68, vcc, v64, s54                   // coord0.2: coord0 += d0*sg0*VW + vc0
	;; [unrolled: 10-line block ×3, first 2 shown]
v_cmp_lt_u32 s[54:55], v68, s[sgprSizeI]           // coord0 < size0
v_cmp_lt_u32 s[58:59], v65, s[sgprSizeJ]           // coord1 < size1
s_and_b64 s[58:59], s[54:55], s[58:59]             // in0 && in1
_v_add_lshl_u32 v131, v66, v68, 0x2                // scaleToBpe: accumulate d0 lower and *= bpe into Cin addr
v_cndmask_b32 v131, -1, v131, s[58:59]             // LDC clip if OOB. offset
_v_add_lshl_u32 v130, v67, v68, 0x2                // scaleToBpe: accumulate d0 lower and *= bpe into Cin addr
v_cndmask_b32 v130, -1, v130, s[58:59]             // LDD clip if OOB. offset
_buffer_load_b32 v72, v71, s[sgprSrdC:sgprSrdC+3], 0, offen offset:0,  sc0 sc1 // load C for beta calc
_buffer_load_b32 v76, v75, s[sgprSrdC:sgprSrdC+3], 0, offen offset:0,  sc0 sc1 // load C for beta calc
_buffer_load_b32 v80, v79, s[sgprSrdC:sgprSrdC+3], 0, offen offset:0,  sc0 sc1 // load C for beta calc
_buffer_load_b32 v84, v83, s[sgprSrdC:sgprSrdC+3], 0, offen offset:0,  sc0 sc1 // load C for beta calc
_buffer_load_b32 v88, v87, s[sgprSrdC:sgprSrdC+3], 0, offen offset:0,  sc0 sc1 // load C for beta calc
_buffer_load_b32 v92, v91, s[sgprSrdC:sgprSrdC+3], 0, offen offset:0,  sc0 sc1 // load C for beta calc
_buffer_load_b32 v96, v95, s[sgprSrdC:sgprSrdC+3], 0, offen offset:0,  sc0 sc1 // load C for beta calc
_buffer_load_b32 v100, v99, s[sgprSrdC:sgprSrdC+3], 0, offen offset:0,  sc0 sc1 // load C for beta calc
_buffer_load_b32 v104, v103, s[sgprSrdC:sgprSrdC+3], 0, offen offset:0,  sc0 sc1 // load C for beta calc
_buffer_load_b32 v108, v107, s[sgprSrdC:sgprSrdC+3], 0, offen offset:0,  sc0 sc1 // load C for beta calc
_buffer_load_b32 v112, v111, s[sgprSrdC:sgprSrdC+3], 0, offen offset:0,  sc0 sc1 // load C for beta calc
_buffer_load_b32 v116, v115, s[sgprSrdC:sgprSrdC+3], 0, offen offset:0,  sc0 sc1 // load C for beta calc
_buffer_load_b32 v120, v119, s[sgprSrdC:sgprSrdC+3], 0, offen offset:0,  sc0 sc1 // load C for beta calc
_buffer_load_b32 v124, v123, s[sgprSrdC:sgprSrdC+3], 0, offen offset:0,  sc0 sc1 // load C for beta calc
_buffer_load_b32 v128, v127, s[sgprSrdC:sgprSrdC+3], 0, offen offset:0,  sc0 sc1 // load C for beta calc
_buffer_load_b32 v132, v131, s[sgprSrdC:sgprSrdC+3], 0, offen offset:0,  sc0 sc1 // load C for beta calc
s_sleep 3 // optimization: sync and wait
s_barrier
s_waitcnt vmcnt(0)                                 // wait C

/* apply mask, calc new C and issue writes */
_v_mac_f32 v[vgprValuC+73], v72, s[sgprBeta]       // finalSum = sum*alpha + C*beta
_v_mac_f32 v[vgprValuC+77], v76, s[sgprBeta]       // finalSum = sum*alpha + C*beta
	;; [unrolled: 1-line block ×7, first 2 shown]
_v_mac_f32 v[vgprValuC+101], v100, s[sgprBeta]     // finalSum = sum*alpha + C*beta
_v_mac_f32 v[vgprValuC+105], v104, s[sgprBeta]     // finalSum = sum*alpha + C*beta
	;; [unrolled: 1-line block ×9, first 2 shown]
_buffer_store_b32 v73, v70, s[sgprSrdD:sgprSrdD+3], 0, offen, offset:0,  sc0 sc1 // store D
_buffer_store_b32 v77, v74, s[sgprSrdD:sgprSrdD+3], 0, offen, offset:0,  sc0 sc1 // store D
	;; [unrolled: 1-line block ×16, first 2 shown]
s_nop 0                                            // 1 wait state required when next inst writes vgprs held by previous dwordx4 store inst
/* optSingleColVgpr=0 optSharedColVgpr=0 optSGPRUsage=BufferLoad_Edge_Mask optSrdIncForRow=0 */
s_sleep 3 // optimization: sync and wait
s_barrier

/******************************************/
/* Global Write Alpha Beta Edge Batch #2 (d1,d0,vc1,vc0) = */
/*    (4,0,0,0:vw1); (4,0,0,1:vw1); (4,0,0,2:vw1); (4,0,0,3:vw1); (4,1,0,0:vw1); (4,1,0,1:vw1); (4,1,0,2:vw1); (4,1,0,3:vw1); (5,0,0,0:vw1); (5,0,0,1:vw1); (5,0,0,2:vw1); (5,0,0,3:vw1); (5,1,0,0:vw1); (5,1,0,1:vw1); (5,1,0,2:vw1); (5,1,0,3:vw1) */
/******************************************/

/* calc coords, apply mask, and issue loads (if necessary) */

/* rC *= alpha batchElements=[(4, 0, 0, 0), (4, 0, 0, 1), (4, 0, 0, 2), (4, 0, 0, 3), (4, 1, 0, 0), (4, 1, 0, 1), (4, 1, 0, 2), (4, 1, 0, 3), (5, 0, 0, 0), (5, 0, 0, 1), (5, 0, 0, 2), (5, 0, 0, 3), (5, 1, 0, 0), (5, 1, 0, 1), (5, 1, 0, 2), (5, 1, 0, 3)] */
v_mul_f32 v[vgprValuC+73], s[sgprAlpha], v[vgprValuC+32] // Multiply MI out reg with alpha
v_mul_f32 v[vgprValuC+77], s[sgprAlpha], v[vgprValuC+33] // Multiply MI out reg with alpha
	;; [unrolled: 1-line block ×16, first 2 shown]
/* (d1,vc1,d0,vc0)=(4,0,0,0) */
_v_add_co_u32 v65, vcc, v65, 16                    // coord1.1: coord1Vgpr += d1*sg1*VW + vc1

/* Fix for UseInitialStridesCD, emitAddressSetupCode */
s_mul_i32 s54, s[sgprStrideC1J], 16                // scale stride
_v_add_u32 v66, v66, s54                           // ROWINC- Move cinRowPtr to next row
s_mul_i32 s54, s[sgprStrideD1J], 16                // scale stride
_v_add_u32 v67, v67, s54                           // Move coutRowPtr to next row
v_cmp_lt_u32 s[54:55], v64, s[sgprSizeI]           // coord0 < size0
v_cmp_lt_u32 s[58:59], v65, s[sgprSizeJ]           // coord1 < size1
s_and_b64 s[58:59], s[54:55], s[58:59]             // in0 && in1
_v_add_lshl_u32 v71, v66, v64, 0x2                 // scaleToBpe: accumulate d0 lower and *= bpe into Cin addr
v_cndmask_b32 v71, -1, v71, s[58:59]               // LDC clip if OOB. offset
_v_add_lshl_u32 v70, v67, v64, 0x2                 // scaleToBpe: accumulate d0 lower and *= bpe into Cin addr
v_cndmask_b32 v70, -1, v70, s[58:59]               // LDD clip if OOB. offset
/* (d1,vc1,d0,vc0)=(4,0,0,1) */
_v_add_co_u32 v68, vcc, v64, 1                     // coord0.1: coord0 += d0*sg0*VW + vc0
v_cmp_lt_u32 s[54:55], v68, s[sgprSizeI]           // coord0 < size0
v_cmp_lt_u32 s[58:59], v65, s[sgprSizeJ]           // coord1 < size1
s_and_b64 s[58:59], s[54:55], s[58:59]             // in0 && in1
_v_add_lshl_u32 v75, v66, v68, 0x2                 // scaleToBpe: accumulate d0 lower and *= bpe into Cin addr
v_cndmask_b32 v75, -1, v75, s[58:59]               // LDC clip if OOB. offset
_v_add_lshl_u32 v74, v67, v68, 0x2                 // scaleToBpe: accumulate d0 lower and *= bpe into Cin addr
v_cndmask_b32 v74, -1, v74, s[58:59]               // LDD clip if OOB. offset
/* (d1,vc1,d0,vc0)=(4,0,0,2) */
_v_add_co_u32 v68, vcc, v64, 2                     // coord0.1: coord0 += d0*sg0*VW + vc0
	;; [unrolled: 9-line block ×3, first 2 shown]
v_cmp_lt_u32 s[54:55], v68, s[sgprSizeI]           // coord0 < size0
v_cmp_lt_u32 s[58:59], v65, s[sgprSizeJ]           // coord1 < size1
s_and_b64 s[58:59], s[54:55], s[58:59]             // in0 && in1
_v_add_lshl_u32 v83, v66, v68, 0x2                 // scaleToBpe: accumulate d0 lower and *= bpe into Cin addr
v_cndmask_b32 v83, -1, v83, s[58:59]               // LDC clip if OOB. offset
_v_add_lshl_u32 v82, v67, v68, 0x2                 // scaleToBpe: accumulate d0 lower and *= bpe into Cin addr
v_cndmask_b32 v82, -1, v82, s[58:59]               // LDD clip if OOB. offset
/* (d1,vc1,d0,vc0)=(4,0,1,0) */
_v_add_co_u32 v68, vcc, v64, 64                    // coord0.1: coord0 += d0*sg0*VW + vc0
v_cmp_lt_u32 s[54:55], v68, s[sgprSizeI]           // coord0 < size0
v_cmp_lt_u32 s[58:59], v65, s[sgprSizeJ]           // coord1 < size1
s_and_b64 s[58:59], s[54:55], s[58:59]             // in0 && in1
_v_add_lshl_u32 v87, v66, v68, 0x2                 // scaleToBpe: accumulate d0 lower and *= bpe into Cin addr
v_cndmask_b32 v87, -1, v87, s[58:59]               // LDC clip if OOB. offset
_v_add_lshl_u32 v86, v67, v68, 0x2                 // scaleToBpe: accumulate d0 lower and *= bpe into Cin addr
v_cndmask_b32 v86, -1, v86, s[58:59]               // LDD clip if OOB. offset
/* (d1,vc1,d0,vc0)=(4,0,1,1) */
s_mov_b32 s54, 65                                  // coordOffset0 d0=1 vc0=1
_v_add_co_u32 v68, vcc, v64, s54                   // coord0.2: coord0 += d0*sg0*VW + vc0
v_cmp_lt_u32 s[54:55], v68, s[sgprSizeI]           // coord0 < size0
v_cmp_lt_u32 s[58:59], v65, s[sgprSizeJ]           // coord1 < size1
s_and_b64 s[58:59], s[54:55], s[58:59]             // in0 && in1
_v_add_lshl_u32 v91, v66, v68, 0x2                 // scaleToBpe: accumulate d0 lower and *= bpe into Cin addr
v_cndmask_b32 v91, -1, v91, s[58:59]               // LDC clip if OOB. offset
_v_add_lshl_u32 v90, v67, v68, 0x2                 // scaleToBpe: accumulate d0 lower and *= bpe into Cin addr
v_cndmask_b32 v90, -1, v90, s[58:59]               // LDD clip if OOB. offset
/* (d1,vc1,d0,vc0)=(4,0,1,2) */
s_mov_b32 s54, 66                                  // coordOffset0 d0=1 vc0=2
_v_add_co_u32 v68, vcc, v64, s54                   // coord0.2: coord0 += d0*sg0*VW + vc0
	;; [unrolled: 10-line block ×3, first 2 shown]
v_cmp_lt_u32 s[54:55], v68, s[sgprSizeI]           // coord0 < size0
v_cmp_lt_u32 s[58:59], v65, s[sgprSizeJ]           // coord1 < size1
s_and_b64 s[58:59], s[54:55], s[58:59]             // in0 && in1
_v_add_lshl_u32 v99, v66, v68, 0x2                 // scaleToBpe: accumulate d0 lower and *= bpe into Cin addr
v_cndmask_b32 v99, -1, v99, s[58:59]               // LDC clip if OOB. offset
_v_add_lshl_u32 v98, v67, v68, 0x2                 // scaleToBpe: accumulate d0 lower and *= bpe into Cin addr
v_cndmask_b32 v98, -1, v98, s[58:59]               // LDD clip if OOB. offset
/* (d1,vc1,d0,vc0)=(5,0,0,0) */
_v_add_co_u32 v65, vcc, v65, 16                    // coord1.1: coord1Vgpr += d1*sg1*VW + vc1

/* Fix for UseInitialStridesCD, emitAddressSetupCode */
s_mul_i32 s54, s[sgprStrideC1J], 16                // scale stride
_v_add_u32 v66, v66, s54                           // ROWINC- Move cinRowPtr to next row
s_mul_i32 s54, s[sgprStrideD1J], 16                // scale stride
_v_add_u32 v67, v67, s54                           // Move coutRowPtr to next row
v_cmp_lt_u32 s[54:55], v64, s[sgprSizeI]           // coord0 < size0
v_cmp_lt_u32 s[58:59], v65, s[sgprSizeJ]           // coord1 < size1
s_and_b64 s[58:59], s[54:55], s[58:59]             // in0 && in1
_v_add_lshl_u32 v103, v66, v64, 0x2                // scaleToBpe: accumulate d0 lower and *= bpe into Cin addr
v_cndmask_b32 v103, -1, v103, s[58:59]             // LDC clip if OOB. offset
_v_add_lshl_u32 v102, v67, v64, 0x2                // scaleToBpe: accumulate d0 lower and *= bpe into Cin addr
v_cndmask_b32 v102, -1, v102, s[58:59]             // LDD clip if OOB. offset
/* (d1,vc1,d0,vc0)=(5,0,0,1) */
_v_add_co_u32 v68, vcc, v64, 1                     // coord0.1: coord0 += d0*sg0*VW + vc0
v_cmp_lt_u32 s[54:55], v68, s[sgprSizeI]           // coord0 < size0
v_cmp_lt_u32 s[58:59], v65, s[sgprSizeJ]           // coord1 < size1
s_and_b64 s[58:59], s[54:55], s[58:59]             // in0 && in1
_v_add_lshl_u32 v107, v66, v68, 0x2                // scaleToBpe: accumulate d0 lower and *= bpe into Cin addr
v_cndmask_b32 v107, -1, v107, s[58:59]             // LDC clip if OOB. offset
_v_add_lshl_u32 v106, v67, v68, 0x2                // scaleToBpe: accumulate d0 lower and *= bpe into Cin addr
v_cndmask_b32 v106, -1, v106, s[58:59]             // LDD clip if OOB. offset
/* (d1,vc1,d0,vc0)=(5,0,0,2) */
_v_add_co_u32 v68, vcc, v64, 2                     // coord0.1: coord0 += d0*sg0*VW + vc0
	;; [unrolled: 9-line block ×3, first 2 shown]
v_cmp_lt_u32 s[54:55], v68, s[sgprSizeI]           // coord0 < size0
v_cmp_lt_u32 s[58:59], v65, s[sgprSizeJ]           // coord1 < size1
s_and_b64 s[58:59], s[54:55], s[58:59]             // in0 && in1
_v_add_lshl_u32 v115, v66, v68, 0x2                // scaleToBpe: accumulate d0 lower and *= bpe into Cin addr
v_cndmask_b32 v115, -1, v115, s[58:59]             // LDC clip if OOB. offset
_v_add_lshl_u32 v114, v67, v68, 0x2                // scaleToBpe: accumulate d0 lower and *= bpe into Cin addr
v_cndmask_b32 v114, -1, v114, s[58:59]             // LDD clip if OOB. offset
/* (d1,vc1,d0,vc0)=(5,0,1,0) */
_v_add_co_u32 v68, vcc, v64, 64                    // coord0.1: coord0 += d0*sg0*VW + vc0
v_cmp_lt_u32 s[54:55], v68, s[sgprSizeI]           // coord0 < size0
v_cmp_lt_u32 s[58:59], v65, s[sgprSizeJ]           // coord1 < size1
s_and_b64 s[58:59], s[54:55], s[58:59]             // in0 && in1
_v_add_lshl_u32 v119, v66, v68, 0x2                // scaleToBpe: accumulate d0 lower and *= bpe into Cin addr
v_cndmask_b32 v119, -1, v119, s[58:59]             // LDC clip if OOB. offset
_v_add_lshl_u32 v118, v67, v68, 0x2                // scaleToBpe: accumulate d0 lower and *= bpe into Cin addr
v_cndmask_b32 v118, -1, v118, s[58:59]             // LDD clip if OOB. offset
/* (d1,vc1,d0,vc0)=(5,0,1,1) */
s_mov_b32 s54, 65                                  // coordOffset0 d0=1 vc0=1
_v_add_co_u32 v68, vcc, v64, s54                   // coord0.2: coord0 += d0*sg0*VW + vc0
v_cmp_lt_u32 s[54:55], v68, s[sgprSizeI]           // coord0 < size0
v_cmp_lt_u32 s[58:59], v65, s[sgprSizeJ]           // coord1 < size1
s_and_b64 s[58:59], s[54:55], s[58:59]             // in0 && in1
_v_add_lshl_u32 v123, v66, v68, 0x2                // scaleToBpe: accumulate d0 lower and *= bpe into Cin addr
v_cndmask_b32 v123, -1, v123, s[58:59]             // LDC clip if OOB. offset
_v_add_lshl_u32 v122, v67, v68, 0x2                // scaleToBpe: accumulate d0 lower and *= bpe into Cin addr
v_cndmask_b32 v122, -1, v122, s[58:59]             // LDD clip if OOB. offset
/* (d1,vc1,d0,vc0)=(5,0,1,2) */
s_mov_b32 s54, 66                                  // coordOffset0 d0=1 vc0=2
_v_add_co_u32 v68, vcc, v64, s54                   // coord0.2: coord0 += d0*sg0*VW + vc0
	;; [unrolled: 10-line block ×3, first 2 shown]
v_cmp_lt_u32 s[54:55], v68, s[sgprSizeI]           // coord0 < size0
v_cmp_lt_u32 s[58:59], v65, s[sgprSizeJ]           // coord1 < size1
s_and_b64 s[58:59], s[54:55], s[58:59]             // in0 && in1
_v_add_lshl_u32 v131, v66, v68, 0x2                // scaleToBpe: accumulate d0 lower and *= bpe into Cin addr
v_cndmask_b32 v131, -1, v131, s[58:59]             // LDC clip if OOB. offset
_v_add_lshl_u32 v130, v67, v68, 0x2                // scaleToBpe: accumulate d0 lower and *= bpe into Cin addr
v_cndmask_b32 v130, -1, v130, s[58:59]             // LDD clip if OOB. offset
_buffer_load_b32 v72, v71, s[sgprSrdC:sgprSrdC+3], 0, offen offset:0,  sc0 sc1 // load C for beta calc
_buffer_load_b32 v76, v75, s[sgprSrdC:sgprSrdC+3], 0, offen offset:0,  sc0 sc1 // load C for beta calc
	;; [unrolled: 1-line block ×16, first 2 shown]
s_sleep 3 // optimization: sync and wait
s_barrier
s_waitcnt vmcnt(0)                                 // wait C

/* apply mask, calc new C and issue writes */
_v_mac_f32 v[vgprValuC+73], v72, s[sgprBeta]       // finalSum = sum*alpha + C*beta
_v_mac_f32 v[vgprValuC+77], v76, s[sgprBeta]       // finalSum = sum*alpha + C*beta
	;; [unrolled: 1-line block ×7, first 2 shown]
_v_mac_f32 v[vgprValuC+101], v100, s[sgprBeta]     // finalSum = sum*alpha + C*beta
_v_mac_f32 v[vgprValuC+105], v104, s[sgprBeta]     // finalSum = sum*alpha + C*beta
	;; [unrolled: 1-line block ×9, first 2 shown]
_buffer_store_b32 v73, v70, s[sgprSrdD:sgprSrdD+3], 0, offen, offset:0,  sc0 sc1 // store D
_buffer_store_b32 v77, v74, s[sgprSrdD:sgprSrdD+3], 0, offen, offset:0,  sc0 sc1 // store D
_buffer_store_b32 v81, v78, s[sgprSrdD:sgprSrdD+3], 0, offen, offset:0,  sc0 sc1 // store D
_buffer_store_b32 v85, v82, s[sgprSrdD:sgprSrdD+3], 0, offen, offset:0,  sc0 sc1 // store D
_buffer_store_b32 v89, v86, s[sgprSrdD:sgprSrdD+3], 0, offen, offset:0,  sc0 sc1 // store D
_buffer_store_b32 v93, v90, s[sgprSrdD:sgprSrdD+3], 0, offen, offset:0,  sc0 sc1 // store D
_buffer_store_b32 v97, v94, s[sgprSrdD:sgprSrdD+3], 0, offen, offset:0,  sc0 sc1 // store D
_buffer_store_b32 v101, v98, s[sgprSrdD:sgprSrdD+3], 0, offen, offset:0,  sc0 sc1 // store D
_buffer_store_b32 v105, v102, s[sgprSrdD:sgprSrdD+3], 0, offen, offset:0,  sc0 sc1 // store D
_buffer_store_b32 v109, v106, s[sgprSrdD:sgprSrdD+3], 0, offen, offset:0,  sc0 sc1 // store D
_buffer_store_b32 v113, v110, s[sgprSrdD:sgprSrdD+3], 0, offen, offset:0,  sc0 sc1 // store D
_buffer_store_b32 v117, v114, s[sgprSrdD:sgprSrdD+3], 0, offen, offset:0,  sc0 sc1 // store D
_buffer_store_b32 v121, v118, s[sgprSrdD:sgprSrdD+3], 0, offen, offset:0,  sc0 sc1 // store D
_buffer_store_b32 v125, v122, s[sgprSrdD:sgprSrdD+3], 0, offen, offset:0,  sc0 sc1 // store D
_buffer_store_b32 v129, v126, s[sgprSrdD:sgprSrdD+3], 0, offen, offset:0,  sc0 sc1 // store D
_buffer_store_b32 v133, v130, s[sgprSrdD:sgprSrdD+3], 0, offen, offset:0,  sc0 sc1 // store D
s_nop 0                                            // 1 wait state required when next inst writes vgprs held by previous dwordx4 store inst
/* optSingleColVgpr=0 optSharedColVgpr=0 optSGPRUsage=BufferLoad_Edge_Mask optSrdIncForRow=0 */
s_sleep 3 // optimization: sync and wait
s_barrier

/******************************************/
/* Global Write Alpha Beta Edge Batch #3 (d1,d0,vc1,vc0) = */
/*    (6,0,0,0:vw1); (6,0,0,1:vw1); (6,0,0,2:vw1); (6,0,0,3:vw1); (6,1,0,0:vw1); (6,1,0,1:vw1); (6,1,0,2:vw1); (6,1,0,3:vw1); (7,0,0,0:vw1); (7,0,0,1:vw1); (7,0,0,2:vw1); (7,0,0,3:vw1); (7,1,0,0:vw1); (7,1,0,1:vw1); (7,1,0,2:vw1); (7,1,0,3:vw1) */
/******************************************/

/* calc coords, apply mask, and issue loads (if necessary) */

/* rC *= alpha batchElements=[(6, 0, 0, 0), (6, 0, 0, 1), (6, 0, 0, 2), (6, 0, 0, 3), (6, 1, 0, 0), (6, 1, 0, 1), (6, 1, 0, 2), (6, 1, 0, 3), (7, 0, 0, 0), (7, 0, 0, 1), (7, 0, 0, 2), (7, 0, 0, 3), (7, 1, 0, 0), (7, 1, 0, 1), (7, 1, 0, 2), (7, 1, 0, 3)] */
v_mul_f32 v[vgprValuC+73], s[sgprAlpha], v[vgprValuC+48] // Multiply MI out reg with alpha
v_mul_f32 v[vgprValuC+77], s[sgprAlpha], v[vgprValuC+49] // Multiply MI out reg with alpha
v_mul_f32 v[vgprValuC+81], s[sgprAlpha], v[vgprValuC+50] // Multiply MI out reg with alpha
v_mul_f32 v[vgprValuC+85], s[sgprAlpha], v[vgprValuC+51] // Multiply MI out reg with alpha
v_mul_f32 v[vgprValuC+89], s[sgprAlpha], v[vgprValuC+52] // Multiply MI out reg with alpha
v_mul_f32 v[vgprValuC+93], s[sgprAlpha], v[vgprValuC+53] // Multiply MI out reg with alpha
v_mul_f32 v[vgprValuC+97], s[sgprAlpha], v[vgprValuC+54] // Multiply MI out reg with alpha
v_mul_f32 v[vgprValuC+101], s[sgprAlpha], v[vgprValuC+55] // Multiply MI out reg with alpha
v_mul_f32 v[vgprValuC+105], s[sgprAlpha], v[vgprValuC+56] // Multiply MI out reg with alpha
v_mul_f32 v[vgprValuC+109], s[sgprAlpha], v[vgprValuC+57] // Multiply MI out reg with alpha
v_mul_f32 v[vgprValuC+113], s[sgprAlpha], v[vgprValuC+58] // Multiply MI out reg with alpha
v_mul_f32 v[vgprValuC+117], s[sgprAlpha], v[vgprValuC+59] // Multiply MI out reg with alpha
v_mul_f32 v[vgprValuC+121], s[sgprAlpha], v[vgprValuC+60] // Multiply MI out reg with alpha
v_mul_f32 v[vgprValuC+125], s[sgprAlpha], v[vgprValuC+61] // Multiply MI out reg with alpha
v_mul_f32 v[vgprValuC+129], s[sgprAlpha], v[vgprValuC+62] // Multiply MI out reg with alpha
v_mul_f32 v[vgprValuC+133], s[sgprAlpha], v[vgprValuC+63] // Multiply MI out reg with alpha
/* (d1,vc1,d0,vc0)=(6,0,0,0) */
_v_add_co_u32 v65, vcc, v65, 16                    // coord1.1: coord1Vgpr += d1*sg1*VW + vc1

/* Fix for UseInitialStridesCD, emitAddressSetupCode */
s_mul_i32 s54, s[sgprStrideC1J], 16                // scale stride
_v_add_u32 v66, v66, s54                           // ROWINC- Move cinRowPtr to next row
s_mul_i32 s54, s[sgprStrideD1J], 16                // scale stride
_v_add_u32 v67, v67, s54                           // Move coutRowPtr to next row
v_cmp_lt_u32 s[54:55], v64, s[sgprSizeI]           // coord0 < size0
v_cmp_lt_u32 s[58:59], v65, s[sgprSizeJ]           // coord1 < size1
s_and_b64 s[58:59], s[54:55], s[58:59]             // in0 && in1
_v_add_lshl_u32 v71, v66, v64, 0x2                 // scaleToBpe: accumulate d0 lower and *= bpe into Cin addr
v_cndmask_b32 v71, -1, v71, s[58:59]               // LDC clip if OOB. offset
_v_add_lshl_u32 v70, v67, v64, 0x2                 // scaleToBpe: accumulate d0 lower and *= bpe into Cin addr
v_cndmask_b32 v70, -1, v70, s[58:59]               // LDD clip if OOB. offset
/* (d1,vc1,d0,vc0)=(6,0,0,1) */
_v_add_co_u32 v68, vcc, v64, 1                     // coord0.1: coord0 += d0*sg0*VW + vc0
v_cmp_lt_u32 s[54:55], v68, s[sgprSizeI]           // coord0 < size0
v_cmp_lt_u32 s[58:59], v65, s[sgprSizeJ]           // coord1 < size1
s_and_b64 s[58:59], s[54:55], s[58:59]             // in0 && in1
_v_add_lshl_u32 v75, v66, v68, 0x2                 // scaleToBpe: accumulate d0 lower and *= bpe into Cin addr
v_cndmask_b32 v75, -1, v75, s[58:59]               // LDC clip if OOB. offset
_v_add_lshl_u32 v74, v67, v68, 0x2                 // scaleToBpe: accumulate d0 lower and *= bpe into Cin addr
v_cndmask_b32 v74, -1, v74, s[58:59]               // LDD clip if OOB. offset
/* (d1,vc1,d0,vc0)=(6,0,0,2) */
_v_add_co_u32 v68, vcc, v64, 2                     // coord0.1: coord0 += d0*sg0*VW + vc0
	;; [unrolled: 9-line block ×3, first 2 shown]
v_cmp_lt_u32 s[54:55], v68, s[sgprSizeI]           // coord0 < size0
v_cmp_lt_u32 s[58:59], v65, s[sgprSizeJ]           // coord1 < size1
s_and_b64 s[58:59], s[54:55], s[58:59]             // in0 && in1
_v_add_lshl_u32 v83, v66, v68, 0x2                 // scaleToBpe: accumulate d0 lower and *= bpe into Cin addr
v_cndmask_b32 v83, -1, v83, s[58:59]               // LDC clip if OOB. offset
_v_add_lshl_u32 v82, v67, v68, 0x2                 // scaleToBpe: accumulate d0 lower and *= bpe into Cin addr
v_cndmask_b32 v82, -1, v82, s[58:59]               // LDD clip if OOB. offset
/* (d1,vc1,d0,vc0)=(6,0,1,0) */
_v_add_co_u32 v68, vcc, v64, 64                    // coord0.1: coord0 += d0*sg0*VW + vc0
v_cmp_lt_u32 s[54:55], v68, s[sgprSizeI]           // coord0 < size0
v_cmp_lt_u32 s[58:59], v65, s[sgprSizeJ]           // coord1 < size1
s_and_b64 s[58:59], s[54:55], s[58:59]             // in0 && in1
_v_add_lshl_u32 v87, v66, v68, 0x2                 // scaleToBpe: accumulate d0 lower and *= bpe into Cin addr
v_cndmask_b32 v87, -1, v87, s[58:59]               // LDC clip if OOB. offset
_v_add_lshl_u32 v86, v67, v68, 0x2                 // scaleToBpe: accumulate d0 lower and *= bpe into Cin addr
v_cndmask_b32 v86, -1, v86, s[58:59]               // LDD clip if OOB. offset
/* (d1,vc1,d0,vc0)=(6,0,1,1) */
s_mov_b32 s54, 65                                  // coordOffset0 d0=1 vc0=1
_v_add_co_u32 v68, vcc, v64, s54                   // coord0.2: coord0 += d0*sg0*VW + vc0
v_cmp_lt_u32 s[54:55], v68, s[sgprSizeI]           // coord0 < size0
v_cmp_lt_u32 s[58:59], v65, s[sgprSizeJ]           // coord1 < size1
s_and_b64 s[58:59], s[54:55], s[58:59]             // in0 && in1
_v_add_lshl_u32 v91, v66, v68, 0x2                 // scaleToBpe: accumulate d0 lower and *= bpe into Cin addr
v_cndmask_b32 v91, -1, v91, s[58:59]               // LDC clip if OOB. offset
_v_add_lshl_u32 v90, v67, v68, 0x2                 // scaleToBpe: accumulate d0 lower and *= bpe into Cin addr
v_cndmask_b32 v90, -1, v90, s[58:59]               // LDD clip if OOB. offset
/* (d1,vc1,d0,vc0)=(6,0,1,2) */
s_mov_b32 s54, 66                                  // coordOffset0 d0=1 vc0=2
_v_add_co_u32 v68, vcc, v64, s54                   // coord0.2: coord0 += d0*sg0*VW + vc0
	;; [unrolled: 10-line block ×3, first 2 shown]
v_cmp_lt_u32 s[54:55], v68, s[sgprSizeI]           // coord0 < size0
v_cmp_lt_u32 s[58:59], v65, s[sgprSizeJ]           // coord1 < size1
s_and_b64 s[58:59], s[54:55], s[58:59]             // in0 && in1
_v_add_lshl_u32 v99, v66, v68, 0x2                 // scaleToBpe: accumulate d0 lower and *= bpe into Cin addr
v_cndmask_b32 v99, -1, v99, s[58:59]               // LDC clip if OOB. offset
_v_add_lshl_u32 v98, v67, v68, 0x2                 // scaleToBpe: accumulate d0 lower and *= bpe into Cin addr
v_cndmask_b32 v98, -1, v98, s[58:59]               // LDD clip if OOB. offset
/* (d1,vc1,d0,vc0)=(7,0,0,0) */
_v_add_co_u32 v65, vcc, v65, 16                    // coord1.1: coord1Vgpr += d1*sg1*VW + vc1

/* Fix for UseInitialStridesCD, emitAddressSetupCode */
s_mul_i32 s54, s[sgprStrideC1J], 16                // scale stride
_v_add_u32 v66, v66, s54                           // ROWINC- Move cinRowPtr to next row
s_mul_i32 s54, s[sgprStrideD1J], 16                // scale stride
_v_add_u32 v67, v67, s54                           // Move coutRowPtr to next row
v_cmp_lt_u32 s[54:55], v64, s[sgprSizeI]           // coord0 < size0
v_cmp_lt_u32 s[58:59], v65, s[sgprSizeJ]           // coord1 < size1
s_and_b64 s[58:59], s[54:55], s[58:59]             // in0 && in1
_v_add_lshl_u32 v103, v66, v64, 0x2                // scaleToBpe: accumulate d0 lower and *= bpe into Cin addr
v_cndmask_b32 v103, -1, v103, s[58:59]             // LDC clip if OOB. offset
_v_add_lshl_u32 v102, v67, v64, 0x2                // scaleToBpe: accumulate d0 lower and *= bpe into Cin addr
v_cndmask_b32 v102, -1, v102, s[58:59]             // LDD clip if OOB. offset
/* (d1,vc1,d0,vc0)=(7,0,0,1) */
_v_add_co_u32 v68, vcc, v64, 1                     // coord0.1: coord0 += d0*sg0*VW + vc0
v_cmp_lt_u32 s[54:55], v68, s[sgprSizeI]           // coord0 < size0
v_cmp_lt_u32 s[58:59], v65, s[sgprSizeJ]           // coord1 < size1
s_and_b64 s[58:59], s[54:55], s[58:59]             // in0 && in1
_v_add_lshl_u32 v107, v66, v68, 0x2                // scaleToBpe: accumulate d0 lower and *= bpe into Cin addr
v_cndmask_b32 v107, -1, v107, s[58:59]             // LDC clip if OOB. offset
_v_add_lshl_u32 v106, v67, v68, 0x2                // scaleToBpe: accumulate d0 lower and *= bpe into Cin addr
v_cndmask_b32 v106, -1, v106, s[58:59]             // LDD clip if OOB. offset
/* (d1,vc1,d0,vc0)=(7,0,0,2) */
_v_add_co_u32 v68, vcc, v64, 2                     // coord0.1: coord0 += d0*sg0*VW + vc0
	;; [unrolled: 9-line block ×3, first 2 shown]
v_cmp_lt_u32 s[54:55], v68, s[sgprSizeI]           // coord0 < size0
v_cmp_lt_u32 s[58:59], v65, s[sgprSizeJ]           // coord1 < size1
s_and_b64 s[58:59], s[54:55], s[58:59]             // in0 && in1
_v_add_lshl_u32 v115, v66, v68, 0x2                // scaleToBpe: accumulate d0 lower and *= bpe into Cin addr
v_cndmask_b32 v115, -1, v115, s[58:59]             // LDC clip if OOB. offset
_v_add_lshl_u32 v114, v67, v68, 0x2                // scaleToBpe: accumulate d0 lower and *= bpe into Cin addr
v_cndmask_b32 v114, -1, v114, s[58:59]             // LDD clip if OOB. offset
/* (d1,vc1,d0,vc0)=(7,0,1,0) */
_v_add_co_u32 v68, vcc, v64, 64                    // coord0.1: coord0 += d0*sg0*VW + vc0
v_cmp_lt_u32 s[54:55], v68, s[sgprSizeI]           // coord0 < size0
v_cmp_lt_u32 s[58:59], v65, s[sgprSizeJ]           // coord1 < size1
s_and_b64 s[58:59], s[54:55], s[58:59]             // in0 && in1
_v_add_lshl_u32 v119, v66, v68, 0x2                // scaleToBpe: accumulate d0 lower and *= bpe into Cin addr
v_cndmask_b32 v119, -1, v119, s[58:59]             // LDC clip if OOB. offset
_v_add_lshl_u32 v118, v67, v68, 0x2                // scaleToBpe: accumulate d0 lower and *= bpe into Cin addr
v_cndmask_b32 v118, -1, v118, s[58:59]             // LDD clip if OOB. offset
/* (d1,vc1,d0,vc0)=(7,0,1,1) */
s_mov_b32 s54, 65                                  // coordOffset0 d0=1 vc0=1
_v_add_co_u32 v68, vcc, v64, s54                   // coord0.2: coord0 += d0*sg0*VW + vc0
v_cmp_lt_u32 s[54:55], v68, s[sgprSizeI]           // coord0 < size0
v_cmp_lt_u32 s[58:59], v65, s[sgprSizeJ]           // coord1 < size1
s_and_b64 s[58:59], s[54:55], s[58:59]             // in0 && in1
_v_add_lshl_u32 v123, v66, v68, 0x2                // scaleToBpe: accumulate d0 lower and *= bpe into Cin addr
v_cndmask_b32 v123, -1, v123, s[58:59]             // LDC clip if OOB. offset
_v_add_lshl_u32 v122, v67, v68, 0x2                // scaleToBpe: accumulate d0 lower and *= bpe into Cin addr
v_cndmask_b32 v122, -1, v122, s[58:59]             // LDD clip if OOB. offset
/* (d1,vc1,d0,vc0)=(7,0,1,2) */
s_mov_b32 s54, 66                                  // coordOffset0 d0=1 vc0=2
_v_add_co_u32 v68, vcc, v64, s54                   // coord0.2: coord0 += d0*sg0*VW + vc0
	;; [unrolled: 10-line block ×3, first 2 shown]
v_cmp_lt_u32 s[54:55], v68, s[sgprSizeI]           // coord0 < size0
v_cmp_lt_u32 s[58:59], v65, s[sgprSizeJ]           // coord1 < size1
s_and_b64 s[58:59], s[54:55], s[58:59]             // in0 && in1
_v_add_lshl_u32 v131, v66, v68, 0x2                // scaleToBpe: accumulate d0 lower and *= bpe into Cin addr
v_cndmask_b32 v131, -1, v131, s[58:59]             // LDC clip if OOB. offset
_v_add_lshl_u32 v130, v67, v68, 0x2                // scaleToBpe: accumulate d0 lower and *= bpe into Cin addr
v_cndmask_b32 v130, -1, v130, s[58:59]             // LDD clip if OOB. offset
_buffer_load_b32 v72, v71, s[sgprSrdC:sgprSrdC+3], 0, offen offset:0,  sc0 sc1 // load C for beta calc
_buffer_load_b32 v76, v75, s[sgprSrdC:sgprSrdC+3], 0, offen offset:0,  sc0 sc1 // load C for beta calc
	;; [unrolled: 1-line block ×16, first 2 shown]
s_sleep 3 // optimization: sync and wait
s_barrier
s_waitcnt vmcnt(0)                                 // wait C

/* apply mask, calc new C and issue writes */
_v_mac_f32 v[vgprValuC+73], v72, s[sgprBeta]       // finalSum = sum*alpha + C*beta
_v_mac_f32 v[vgprValuC+77], v76, s[sgprBeta]       // finalSum = sum*alpha + C*beta
	;; [unrolled: 1-line block ×7, first 2 shown]
_v_mac_f32 v[vgprValuC+101], v100, s[sgprBeta]     // finalSum = sum*alpha + C*beta
_v_mac_f32 v[vgprValuC+105], v104, s[sgprBeta]     // finalSum = sum*alpha + C*beta
	;; [unrolled: 1-line block ×9, first 2 shown]
_buffer_store_b32 v73, v70, s[sgprSrdD:sgprSrdD+3], 0, offen, offset:0,  sc0 sc1 // store D
_buffer_store_b32 v77, v74, s[sgprSrdD:sgprSrdD+3], 0, offen, offset:0,  sc0 sc1 // store D
	;; [unrolled: 1-line block ×16, first 2 shown]
s_nop 0                                            // 1 wait state required when next inst writes vgprs held by previous dwordx4 store inst
s_branch label_GW_End_118                          // jump to end
label_GW_End_118:

label_0123:  /// KernelEnd
s_endpgm                                           // Kernel End

